;; amdgpu-corpus repo=ROCm/rocFFT kind=compiled arch=gfx1030 opt=O3
	.text
	.amdgcn_target "amdgcn-amd-amdhsa--gfx1030"
	.amdhsa_code_object_version 6
	.protected	bluestein_single_fwd_len297_dim1_dp_op_CI_CI ; -- Begin function bluestein_single_fwd_len297_dim1_dp_op_CI_CI
	.globl	bluestein_single_fwd_len297_dim1_dp_op_CI_CI
	.p2align	8
	.type	bluestein_single_fwd_len297_dim1_dp_op_CI_CI,@function
bluestein_single_fwd_len297_dim1_dp_op_CI_CI: ; @bluestein_single_fwd_len297_dim1_dp_op_CI_CI
; %bb.0:
	s_load_dwordx4 s[12:15], s[4:5], 0x28
	v_mul_u32_u24_e32 v1, 0x7c2, v0
	s_mov_b64 s[42:43], s[2:3]
	s_mov_b64 s[40:41], s[0:1]
	s_mov_b32 s0, exec_lo
	s_add_u32 s40, s40, s7
	v_lshrrev_b32_e32 v1, 16, v1
	s_addc_u32 s41, s41, 0
	v_mad_u64_u32 v[144:145], null, s6, 7, v[1:2]
	v_mov_b32_e32 v145, 0
	s_waitcnt lgkmcnt(0)
	v_cmpx_gt_u64_e64 s[12:13], v[144:145]
	s_cbranch_execz .LBB0_10
; %bb.1:
	s_clause 0x1
	s_load_dwordx4 s[8:11], s[4:5], 0x18
	s_load_dwordx4 s[0:3], s[4:5], 0x0
	v_mul_lo_u16 v1, v1, 33
	s_mov_b32 s13, 0x3fe491b7
	s_mov_b32 s12, 0x523c161c
	s_load_dwordx2 s[4:5], s[4:5], 0x38
                                        ; implicit-def: $vgpr140_vgpr141
	v_sub_nc_u16 v36, v0, v1
	v_and_b32_e32 v243, 0xffff, v36
	v_lshlrev_b32_e32 v109, 4, v243
	s_waitcnt lgkmcnt(0)
	s_load_dwordx4 s[16:19], s[8:9], 0x0
	v_add_co_u32 v238, s6, s0, v109
	v_add_co_ci_u32_e64 v239, null, s1, 0, s6
	v_add_co_u32 v24, vcc_lo, 0x800, v238
	v_add_co_ci_u32_e32 v25, vcc_lo, 0, v239, vcc_lo
	s_waitcnt lgkmcnt(0)
	v_mad_u64_u32 v[16:17], null, s18, v144, 0
	v_mad_u64_u32 v[18:19], null, s16, v243, 0
	s_mul_i32 s6, s16, 0x210
	v_mov_b32_e32 v0, v17
	v_mov_b32_e32 v1, v19
	v_mad_u64_u32 v[2:3], null, s19, v144, v[0:1]
	v_mov_b32_e32 v17, v2
	v_mad_u64_u32 v[19:20], null, s17, v243, v[1:2]
	s_clause 0x3
	global_load_dwordx4 v[110:113], v109, s[0:1]
	global_load_dwordx4 v[2:5], v109, s[0:1] offset:528
	global_load_dwordx4 v[6:9], v109, s[0:1] offset:1056
	;; [unrolled: 1-line block ×3, first 2 shown]
	s_mul_i32 s0, s17, 0x210
	v_lshlrev_b64 v[16:17], 4, v[16:17]
	s_mul_hi_u32 s1, s16, 0x210
	s_add_i32 s1, s1, s0
	v_lshlrev_b64 v[18:19], 4, v[18:19]
	v_add_co_u32 v0, vcc_lo, s14, v16
	v_add_co_ci_u32_e32 v1, vcc_lo, s15, v17, vcc_lo
	s_mov_b32 s14, 0x7e0b738b
	v_add_co_u32 v26, vcc_lo, v0, v18
	v_add_co_ci_u32_e32 v27, vcc_lo, v1, v19, vcc_lo
	s_clause 0x1
	global_load_dwordx4 v[20:23], v[24:25], off offset:64
	global_load_dwordx4 v[16:19], v[24:25], off offset:592
	v_add_co_u32 v28, vcc_lo, v26, s6
	v_add_co_ci_u32_e32 v29, vcc_lo, s1, v27, vcc_lo
	v_add_co_u32 v145, vcc_lo, 0x1000, v238
	v_add_co_ci_u32_e32 v146, vcc_lo, 0, v239, vcc_lo
	;; [unrolled: 2-line block ×3, first 2 shown]
	s_clause 0x2
	global_load_dwordx4 v[37:40], v[26:27], off
	global_load_dwordx4 v[41:44], v[28:29], off
	global_load_dwordx4 v[45:48], v[30:31], off
	v_add_co_u32 v32, vcc_lo, v30, s6
	v_add_co_ci_u32_e32 v33, vcc_lo, s1, v31, vcc_lo
	v_mul_hi_u32 v0, 0x24924925, v144
	v_add_co_u32 v26, vcc_lo, v32, s6
	v_add_co_ci_u32_e32 v27, vcc_lo, s1, v33, vcc_lo
	s_clause 0x1
	global_load_dwordx4 v[49:52], v[32:33], off
	global_load_dwordx4 v[53:56], v[26:27], off
	v_add_co_u32 v28, vcc_lo, v26, s6
	v_add_co_ci_u32_e32 v29, vcc_lo, s1, v27, vcc_lo
	v_sub_nc_u32_e32 v1, v144, v0
	v_add_co_u32 v26, vcc_lo, v28, s6
	v_add_co_ci_u32_e32 v27, vcc_lo, s1, v29, vcc_lo
	global_load_dwordx4 v[57:60], v[28:29], off
	v_add_co_u32 v32, vcc_lo, v26, s6
	v_add_co_ci_u32_e32 v33, vcc_lo, s1, v27, vcc_lo
	global_load_dwordx4 v[61:64], v[26:27], off
	v_add_co_u32 v69, vcc_lo, v32, s6
	v_add_co_ci_u32_e32 v70, vcc_lo, s1, v33, vcc_lo
	s_clause 0x1
	global_load_dwordx4 v[28:31], v[24:25], off offset:1120
	global_load_dwordx4 v[24:27], v[24:25], off offset:1648
	global_load_dwordx4 v[65:68], v[32:33], off
	global_load_dwordx4 v[32:35], v[145:146], off offset:128
	global_load_dwordx4 v[69:72], v[69:70], off
	v_lshrrev_b32_e32 v1, 1, v1
	s_mov_b32 s6, 0x8c811c17
	s_mov_b32 s0, 0xa2cf5039
	;; [unrolled: 1-line block ×4, first 2 shown]
	v_add_nc_u32_e32 v0, v1, v0
	s_mov_b32 s15, 0x3fc63a1a
	v_add_nc_u16 v1, v36, 33
	v_cmp_gt_u16_e32 vcc_lo, 27, v36
	v_lshrrev_b32_e32 v0, 2, v0
	v_mul_lo_u32 v0, v0, 7
	v_sub_nc_u32_e32 v0, v144, v0
	v_mul_u32_u24_e32 v0, 0x129, v0
	v_lshlrev_b32_e32 v136, 4, v0
	v_and_b32_e32 v0, 0xff, v36
	v_add_nc_u32_e32 v236, v109, v136
	v_mul_lo_u16 v0, v0, 57
	v_lshrrev_b16 v0, 9, v0
	s_waitcnt vmcnt(11)
	v_mul_f64 v[73:74], v[39:40], v[112:113]
	s_waitcnt vmcnt(10)
	v_mul_f64 v[77:78], v[43:44], v[4:5]
	;; [unrolled: 2-line block ×3, first 2 shown]
	v_mul_f64 v[75:76], v[37:38], v[112:113]
	v_mul_f64 v[79:80], v[41:42], v[4:5]
	;; [unrolled: 1-line block ×3, first 2 shown]
	s_waitcnt vmcnt(8)
	v_mul_f64 v[85:86], v[51:52], v[14:15]
	v_mul_f64 v[87:88], v[49:50], v[14:15]
	s_waitcnt vmcnt(7)
	v_mul_f64 v[89:90], v[55:56], v[22:23]
	v_mul_f64 v[91:92], v[53:54], v[22:23]
	v_fma_f64 v[37:38], v[37:38], v[110:111], v[73:74]
	buffer_store_dword v110, off, s[40:43], 0 ; 4-byte Folded Spill
	buffer_store_dword v111, off, s[40:43], 0 offset:4 ; 4-byte Folded Spill
	buffer_store_dword v112, off, s[40:43], 0 offset:8 ; 4-byte Folded Spill
	buffer_store_dword v113, off, s[40:43], 0 offset:12 ; 4-byte Folded Spill
	v_fma_f64 v[41:42], v[41:42], v[2:3], v[77:78]
	buffer_store_dword v2, off, s[40:43], 0 offset:24 ; 4-byte Folded Spill
	buffer_store_dword v3, off, s[40:43], 0 offset:28 ; 4-byte Folded Spill
	;; [unrolled: 1-line block ×4, first 2 shown]
	v_fma_f64 v[45:46], v[45:46], v[6:7], v[81:82]
	buffer_store_dword v6, off, s[40:43], 0 offset:40 ; 4-byte Folded Spill
	buffer_store_dword v7, off, s[40:43], 0 offset:44 ; 4-byte Folded Spill
	;; [unrolled: 1-line block ×4, first 2 shown]
	s_waitcnt vmcnt(6)
	v_mul_f64 v[93:94], v[59:60], v[18:19]
	v_mul_f64 v[95:96], v[57:58], v[18:19]
	s_waitcnt vmcnt(4)
	v_mul_f64 v[97:98], v[63:64], v[30:31]
	v_mul_f64 v[99:100], v[61:62], v[30:31]
	;; [unrolled: 3-line block ×4, first 2 shown]
	v_fma_f64 v[49:50], v[49:50], v[12:13], v[85:86]
	v_fma_f64 v[51:52], v[51:52], v[12:13], -v[87:88]
	v_fma_f64 v[53:54], v[53:54], v[20:21], v[89:90]
	v_fma_f64 v[55:56], v[55:56], v[20:21], -v[91:92]
	s_load_dwordx4 s[8:11], s[10:11], 0x0
	v_fma_f64 v[57:58], v[57:58], v[16:17], v[93:94]
	v_fma_f64 v[59:60], v[59:60], v[16:17], -v[95:96]
	v_fma_f64 v[61:62], v[61:62], v[28:29], v[97:98]
	v_fma_f64 v[63:64], v[63:64], v[28:29], -v[99:100]
	;; [unrolled: 2-line block ×4, first 2 shown]
	v_fma_f64 v[39:40], v[39:40], v[110:111], -v[75:76]
	v_fma_f64 v[43:44], v[43:44], v[2:3], -v[79:80]
	v_add_nc_u16 v2, v36, 0x42
	v_fma_f64 v[47:48], v[47:48], v[6:7], -v[83:84]
	v_and_b32_e32 v3, 0xff, v1
	ds_write_b128 v236, v[37:40]
	ds_write_b128 v236, v[41:44] offset:528
	ds_write_b128 v236, v[45:48] offset:1056
	ds_write_b128 v236, v[49:52] offset:1584
	ds_write_b128 v236, v[53:56] offset:2112
	ds_write_b128 v236, v[57:60] offset:2640
	ds_write_b128 v236, v[61:64] offset:3168
	ds_write_b128 v236, v[65:68] offset:3696
	ds_write_b128 v236, v[69:72] offset:4224
	s_waitcnt lgkmcnt(0)
	s_waitcnt_vscnt null, 0x0
	s_barrier
	buffer_gl0_inv
	ds_read_b128 v[37:40], v236 offset:528
	ds_read_b128 v[41:44], v236 offset:4224
	;; [unrolled: 1-line block ×6, first 2 shown]
	ds_read_b128 v[61:64], v236
	v_mul_lo_u16 v3, v3, 57
	v_lshrrev_b16 v3, 9, v3
	s_waitcnt lgkmcnt(5)
	v_add_f64 v[65:66], v[37:38], -v[41:42]
	v_add_f64 v[67:68], v[39:40], -v[43:44]
	v_add_f64 v[69:70], v[37:38], v[41:42]
	v_add_f64 v[71:72], v[39:40], v[43:44]
	s_waitcnt lgkmcnt(3)
	v_add_f64 v[73:74], v[45:46], v[49:50]
	v_add_f64 v[75:76], v[47:48], v[51:52]
	v_add_f64 v[77:78], v[45:46], -v[49:50]
	v_add_f64 v[79:80], v[47:48], -v[51:52]
	s_waitcnt lgkmcnt(1)
	v_add_f64 v[81:82], v[57:58], v[53:54]
	v_add_f64 v[83:84], v[59:60], v[55:56]
	ds_read_b128 v[37:40], v236 offset:1584
	ds_read_b128 v[41:44], v236 offset:3168
	v_add_f64 v[53:54], v[57:58], -v[53:54]
	v_add_f64 v[55:56], v[59:60], -v[55:56]
	s_waitcnt lgkmcnt(0)
	s_barrier
	buffer_gl0_inv
	v_mul_f64 v[57:58], v[65:66], s[12:13]
	v_mul_f64 v[59:60], v[67:68], s[12:13]
	v_fma_f64 v[85:86], v[69:70], s[0:1], v[61:62]
	v_fma_f64 v[87:88], v[71:72], s[0:1], v[63:64]
	s_mov_b32 s13, 0xbfe491b7
	v_fma_f64 v[89:90], v[73:74], s[0:1], v[61:62]
	v_fma_f64 v[91:92], v[75:76], s[0:1], v[63:64]
	v_mul_f64 v[93:94], v[77:78], s[6:7]
	v_mul_f64 v[95:96], v[79:80], s[6:7]
	v_fma_f64 v[97:98], v[81:82], s[0:1], v[61:62]
	v_fma_f64 v[99:100], v[83:84], s[0:1], v[63:64]
	v_mul_f64 v[101:102], v[77:78], s[12:13]
	v_mul_f64 v[103:104], v[79:80], s[12:13]
	v_add_f64 v[105:106], v[37:38], v[41:42]
	v_add_f64 v[107:108], v[39:40], v[43:44]
	;; [unrolled: 1-line block ×4, first 2 shown]
	v_add_f64 v[37:38], v[37:38], -v[41:42]
	v_add_f64 v[39:40], v[39:40], -v[43:44]
	s_mov_b32 s1, 0x3febb67a
	s_mov_b32 s0, 0xe8584cab
	v_fma_f64 v[41:42], v[53:54], s[6:7], v[57:58]
	v_fma_f64 v[43:44], v[55:56], s[6:7], v[59:60]
	;; [unrolled: 1-line block ×6, first 2 shown]
	v_fma_f64 v[89:90], v[53:54], s[12:13], -v[93:94]
	v_fma_f64 v[91:92], v[55:56], s[12:13], -v[95:96]
	v_fma_f64 v[93:94], v[73:74], s[14:15], v[97:98]
	v_fma_f64 v[95:96], v[75:76], s[14:15], v[99:100]
	;; [unrolled: 1-line block ×4, first 2 shown]
	v_add_f64 v[101:102], v[77:78], v[65:66]
	v_add_f64 v[103:104], v[79:80], v[67:68]
	;; [unrolled: 1-line block ×8, first 2 shown]
	s_mov_b32 s7, 0xbfebb67a
	s_mov_b32 s6, s0
	v_fma_f64 v[41:42], v[37:38], s[0:1], v[41:42]
	v_fma_f64 v[57:58], v[105:106], -0.5, v[57:58]
	v_fma_f64 v[43:44], v[39:40], s[0:1], v[43:44]
	v_fma_f64 v[59:60], v[107:108], -0.5, v[59:60]
	v_fma_f64 v[85:86], v[105:106], -0.5, v[85:86]
	;; [unrolled: 1-line block ×3, first 2 shown]
	v_fma_f64 v[89:90], v[37:38], s[0:1], v[89:90]
	v_fma_f64 v[91:92], v[39:40], s[0:1], v[91:92]
	v_fma_f64 v[93:94], v[105:106], -0.5, v[93:94]
	v_fma_f64 v[95:96], v[107:108], -0.5, v[95:96]
	v_fma_f64 v[37:38], v[37:38], s[6:7], v[97:98]
	v_fma_f64 v[39:40], v[39:40], s[6:7], v[99:100]
	s_mov_b32 s12, 0x748a0bf8
	s_mov_b32 s14, 0x42522d1b
	;; [unrolled: 1-line block ×4, first 2 shown]
	v_add_f64 v[45:46], v[45:46], v[109:110]
	v_add_f64 v[47:48], v[47:48], v[111:112]
	v_add_f64 v[97:98], v[101:102], -v[53:54]
	v_add_f64 v[99:100], v[103:104], -v[55:56]
	v_fma_f64 v[101:102], v[117:118], -0.5, v[113:114]
	v_fma_f64 v[103:104], v[119:120], -0.5, v[115:116]
	v_fma_f64 v[77:78], v[77:78], s[12:13], v[41:42]
	v_fma_f64 v[41:42], v[73:74], s[14:15], v[57:58]
	;; [unrolled: 1-line block ×12, first 2 shown]
	v_and_b32_e32 v85, 0xff, v2
	v_mul_lo_u16 v86, v3, 9
	v_add_f64 v[81:82], v[49:50], v[45:46]
	v_add_f64 v[83:84], v[51:52], v[47:48]
	v_mul_f64 v[55:56], v[97:98], s[0:1]
	v_mul_f64 v[53:54], v[99:100], s[0:1]
	v_fma_f64 v[37:38], v[99:100], s[0:1], v[101:102]
	v_fma_f64 v[39:40], v[97:98], s[6:7], v[103:104]
	v_sub_nc_u16 v1, v1, v86
	s_mov_b32 s0, 0xe8584caa
	v_add_f64 v[41:42], v[79:80], v[41:42]
	v_add_f64 v[43:44], v[43:44], -v[77:78]
	s_mov_b32 s6, s0
	v_add_f64 v[45:46], v[65:66], v[67:68]
	v_add_f64 v[47:48], v[69:70], -v[73:74]
	v_add_f64 v[51:52], v[59:60], -v[75:76]
	v_add_f64 v[49:50], v[57:58], v[71:72]
	v_mul_lo_u16 v57, v0, 9
	v_mul_lo_u16 v58, v85, 57
	;; [unrolled: 1-line block ×3, first 2 shown]
	v_sub_nc_u16 v120, v36, v57
	v_lshrrev_b16 v121, 9, v58
	v_add_f64 v[57:58], v[61:62], v[81:82]
	v_add_f64 v[59:60], v[63:64], v[83:84]
	v_fma_f64 v[53:54], v[53:54], -2.0, v[37:38]
	v_fma_f64 v[55:56], v[55:56], 2.0, v[39:40]
	v_lshlrev_b16 v87, 1, v120
	v_fma_f64 v[61:62], v[79:80], -2.0, v[41:42]
	v_fma_f64 v[63:64], v[77:78], 2.0, v[43:44]
	v_mad_u16 v0, v0, 27, v120
	v_fma_f64 v[65:66], v[65:66], -2.0, v[45:46]
	v_fma_f64 v[67:68], v[73:74], 2.0, v[47:48]
	v_mul_lo_u16 v74, v121, 9
	v_fma_f64 v[69:70], v[71:72], -2.0, v[49:50]
	v_fma_f64 v[71:72], v[75:76], 2.0, v[51:52]
	v_and_b32_e32 v75, 0xffff, v85
	v_mov_b32_e32 v73, 5
	v_and_b32_e32 v76, 0xfe, v87
	v_sub_nc_u16 v2, v2, v74
	v_and_b32_e32 v0, 0xff, v0
	v_lshl_add_u32 v242, v75, 4, v136
	v_lshlrev_b32_sdwa v74, v73, v1 dst_sel:DWORD dst_unused:UNUSED_PAD src0_sel:DWORD src1_sel:BYTE_0
	v_lshlrev_b32_e32 v75, 4, v76
	ds_write_b128 v242, v[37:40] offset:48
	ds_write_b128 v242, v[57:60]
	ds_write_b128 v242, v[41:44] offset:16
	ds_write_b128 v242, v[45:48] offset:64
	;; [unrolled: 1-line block ×7, first 2 shown]
	v_lshlrev_b32_sdwa v37, v73, v2 dst_sel:DWORD dst_unused:UNUSED_PAD src0_sel:DWORD src1_sel:BYTE_0
	s_waitcnt lgkmcnt(0)
	s_barrier
	buffer_gl0_inv
	s_clause 0x5
	global_load_dwordx4 v[52:55], v75, s[2:3]
	global_load_dwordx4 v[48:51], v75, s[2:3] offset:16
	global_load_dwordx4 v[44:47], v74, s[2:3]
	global_load_dwordx4 v[40:43], v74, s[2:3] offset:16
	;; [unrolled: 2-line block ×3, first 2 shown]
	ds_read_b128 v[64:67], v236 offset:1584
	ds_read_b128 v[68:71], v236 offset:3168
	;; [unrolled: 1-line block ×7, first 2 shown]
	v_mov_b32_e32 v39, 27
	v_lshl_add_u32 v237, v0, 4, v136
	v_mul_u32_u24_sdwa v3, v3, v39 dst_sel:DWORD dst_unused:UNUSED_PAD src0_sel:WORD_0 src1_sel:DWORD
	v_mul_u32_u24_sdwa v39, v121, v39 dst_sel:DWORD dst_unused:UNUSED_PAD src0_sel:WORD_0 src1_sel:DWORD
	v_add_nc_u32_sdwa v1, v3, v1 dst_sel:DWORD dst_unused:UNUSED_PAD src0_sel:DWORD src1_sel:BYTE_0
	v_add_nc_u32_sdwa v2, v39, v2 dst_sel:DWORD dst_unused:UNUSED_PAD src0_sel:DWORD src1_sel:BYTE_0
	v_lshl_add_u32 v235, v1, 4, v136
	v_lshl_add_u32 v0, v2, 4, v136
	s_waitcnt vmcnt(3) lgkmcnt(4)
	v_mul_f64 v[98:99], v[74:75], v[46:47]
	v_mul_f64 v[37:38], v[66:67], v[54:55]
	;; [unrolled: 1-line block ×5, first 2 shown]
	s_waitcnt vmcnt(2) lgkmcnt(3)
	v_mul_f64 v[100:101], v[78:79], v[42:43]
	v_mul_f64 v[102:103], v[72:73], v[46:47]
	v_mul_f64 v[104:105], v[76:77], v[42:43]
	s_waitcnt vmcnt(1) lgkmcnt(2)
	v_mul_f64 v[106:107], v[82:83], v[62:63]
	s_waitcnt vmcnt(0) lgkmcnt(1)
	v_mul_f64 v[108:109], v[86:87], v[58:59]
	v_mul_f64 v[110:111], v[80:81], v[62:63]
	;; [unrolled: 1-line block ×3, first 2 shown]
	v_fma_f64 v[72:73], v[72:73], v[44:45], -v[98:99]
	v_fma_f64 v[37:38], v[64:65], v[52:53], -v[37:38]
	;; [unrolled: 1-line block ×3, first 2 shown]
	v_fma_f64 v[94:95], v[66:67], v[52:53], v[94:95]
	v_fma_f64 v[96:97], v[70:71], v[48:49], v[96:97]
	v_fma_f64 v[76:77], v[76:77], v[40:41], -v[100:101]
	v_fma_f64 v[74:75], v[74:75], v[44:45], v[102:103]
	v_fma_f64 v[78:79], v[78:79], v[40:41], v[104:105]
	v_fma_f64 v[80:81], v[80:81], v[60:61], -v[106:107]
	v_fma_f64 v[84:85], v[84:85], v[56:57], -v[108:109]
	v_fma_f64 v[82:83], v[82:83], v[60:61], v[110:111]
	v_fma_f64 v[86:87], v[86:87], v[56:57], v[112:113]
	ds_read_b128 v[64:67], v236
	ds_read_b128 v[68:71], v236 offset:528
	buffer_store_dword v136, off, s[40:43], 0 offset:16 ; 4-byte Folded Spill
	s_waitcnt lgkmcnt(0)
	s_waitcnt_vscnt null, 0x0
	s_barrier
	buffer_gl0_inv
                                        ; implicit-def: $vgpr136_vgpr137
	v_add_f64 v[98:99], v[37:38], v[92:93]
	v_add_f64 v[100:101], v[94:95], v[96:97]
	;; [unrolled: 1-line block ×3, first 2 shown]
	v_add_f64 v[112:113], v[94:95], -v[96:97]
	v_add_f64 v[104:105], v[74:75], v[78:79]
	v_add_f64 v[118:119], v[88:89], v[80:81]
	;; [unrolled: 1-line block ×9, first 2 shown]
	v_add_f64 v[37:38], v[37:38], -v[92:93]
	v_add_f64 v[74:75], v[74:75], -v[78:79]
	;; [unrolled: 1-line block ×5, first 2 shown]
	v_fma_f64 v[64:65], v[98:99], -0.5, v[64:65]
	v_fma_f64 v[66:67], v[100:101], -0.5, v[66:67]
	;; [unrolled: 1-line block ×4, first 2 shown]
	v_add_f64 v[104:105], v[118:119], v[84:85]
	v_fma_f64 v[88:89], v[106:107], -0.5, v[88:89]
	v_fma_f64 v[90:91], v[108:109], -0.5, v[90:91]
	v_add_f64 v[108:109], v[110:111], v[92:93]
	v_add_f64 v[110:111], v[94:95], v[96:97]
	;; [unrolled: 1-line block ×5, first 2 shown]
	v_fma_f64 v[132:133], v[112:113], s[0:1], v[64:65]
	v_fma_f64 v[128:129], v[112:113], s[6:7], v[64:65]
	;; [unrolled: 1-line block ×12, first 2 shown]
	ds_write_b128 v237, v[108:111]
	ds_write_b128 v237, v[132:135] offset:144
	ds_write_b128 v237, v[128:131] offset:288
	ds_write_b128 v235, v[120:123]
	ds_write_b128 v235, v[112:115] offset:144
	ds_write_b128 v235, v[100:103] offset:288
	ds_write_b128 v0, v[104:107]
	ds_write_b128 v0, v[116:119] offset:144
	buffer_store_dword v0, off, s[40:43], 0 offset:20 ; 4-byte Folded Spill
	ds_write_b128 v0, v[124:127] offset:288
	s_waitcnt lgkmcnt(0)
	s_waitcnt_vscnt null, 0x0
	s_barrier
	buffer_gl0_inv
	s_and_saveexec_b32 s0, vcc_lo
	s_cbranch_execz .LBB0_3
; %bb.2:
	ds_read_b128 v[108:111], v236
	ds_read_b128 v[132:135], v236 offset:432
	ds_read_b128 v[128:131], v236 offset:864
	;; [unrolled: 1-line block ×10, first 2 shown]
.LBB0_3:
	s_or_b32 exec_lo, exec_lo, s0
	v_subrev_nc_u32_e32 v0, 27, v243
	s_mov_b32 s6, 0x8764f0ba
	s_mov_b32 s12, 0xd9c712b6
	s_mov_b32 s16, 0xbb3a28a1
	s_mov_b32 s7, 0x3feaeb8c
	v_cndmask_b32_e32 v0, v0, v243, vcc_lo
	s_mov_b32 s13, 0x3fda9628
	s_mov_b32 s17, 0xbfe82f19
	s_mov_b32 s14, 0x43842ef
	s_mov_b32 s18, 0x7f775887
	v_mul_i32_i24_e32 v1, 0xa0, v0
	v_mul_hi_i32_i24_e32 v0, 0xa0, v0
	s_mov_b32 s20, 0xfd768dbf
	s_mov_b32 s15, 0xbfefac9e
	;; [unrolled: 1-line block ×3, first 2 shown]
	v_add_co_u32 v80, s0, s2, v1
	v_add_co_ci_u32_e64 v81, s0, s3, v0, s0
	s_mov_b32 s0, 0xf8bb580b
	s_mov_b32 s2, 0x8eee2c13
	s_mov_b32 s1, 0xbfe14ced
	s_clause 0x9
	global_load_dwordx4 v[36:39], v[80:81], off offset:288
	global_load_dwordx4 v[96:99], v[80:81], off offset:432
	;; [unrolled: 1-line block ×10, first 2 shown]
	s_mov_b32 s3, 0xbfed1bb4
	s_mov_b32 s21, 0x3fd207e7
	;; [unrolled: 1-line block ×12, first 2 shown]
	s_waitcnt vmcnt(9) lgkmcnt(9)
	v_mul_f64 v[147:148], v[132:133], v[38:39]
	s_waitcnt vmcnt(8) lgkmcnt(0)
	v_mul_f64 v[149:150], v[140:141], v[98:99]
	v_mul_f64 v[151:152], v[134:135], v[38:39]
	;; [unrolled: 1-line block ×3, first 2 shown]
	s_waitcnt vmcnt(7)
	v_mul_f64 v[155:156], v[130:131], v[90:91]
	v_mul_f64 v[157:158], v[128:129], v[90:91]
	s_waitcnt vmcnt(6)
	v_mul_f64 v[159:160], v[136:137], v[94:95]
	v_mul_f64 v[161:162], v[138:139], v[94:95]
	s_waitcnt vmcnt(2)
	v_mul_f64 v[163:164], v[116:117], v[74:75]
	s_waitcnt vmcnt(0)
	v_mul_f64 v[165:166], v[104:105], v[82:83]
	v_fma_f64 v[167:168], v[134:135], v[36:37], v[147:148]
	v_fma_f64 v[0:1], v[142:143], v[96:97], v[149:150]
	v_fma_f64 v[169:170], v[132:133], v[36:37], -v[151:152]
	v_fma_f64 v[8:9], v[140:141], v[96:97], -v[153:154]
	v_mul_f64 v[147:148], v[122:123], v[66:67]
	v_mul_f64 v[149:150], v[120:121], v[66:67]
	;; [unrolled: 1-line block ×4, first 2 shown]
	v_fma_f64 v[140:141], v[128:129], v[88:89], -v[155:156]
	v_fma_f64 v[142:143], v[130:131], v[88:89], v[157:158]
	v_fma_f64 v[10:11], v[138:139], v[92:93], v[159:160]
	v_fma_f64 v[2:3], v[136:137], v[92:93], -v[161:162]
	v_mul_f64 v[155:156], v[114:115], v[78:79]
	v_mul_f64 v[157:158], v[112:113], v[78:79]
	;; [unrolled: 1-line block ×3, first 2 shown]
	v_fma_f64 v[163:164], v[118:119], v[72:73], v[163:164]
	v_fma_f64 v[181:182], v[106:107], v[80:81], v[165:166]
	v_add_f64 v[187:188], v[167:168], -v[0:1]
	v_add_f64 v[225:226], v[167:168], v[0:1]
	v_add_f64 v[191:192], v[169:170], -v[8:9]
	v_fma_f64 v[136:137], v[120:121], v[64:65], -v[147:148]
	v_fma_f64 v[138:139], v[122:123], v[64:65], v[149:150]
	v_fma_f64 v[126:127], v[126:127], v[68:69], v[151:152]
	v_fma_f64 v[122:123], v[124:125], v[68:69], -v[153:154]
	v_add_f64 v[223:224], v[169:170], v[8:9]
	v_mul_f64 v[147:148], v[102:103], v[86:87]
	v_add_f64 v[124:125], v[142:143], -v[10:11]
	v_add_f64 v[120:121], v[140:141], -v[2:3]
	v_mul_f64 v[149:150], v[100:101], v[86:87]
	v_mul_f64 v[153:154], v[106:107], v[82:83]
	v_fma_f64 v[173:174], v[112:113], v[76:77], -v[155:156]
	v_fma_f64 v[175:176], v[114:115], v[76:77], v[157:158]
	v_fma_f64 v[161:162], v[116:117], v[72:73], -v[159:160]
	v_add_f64 v[114:115], v[140:141], v[2:3]
	v_add_f64 v[159:160], v[142:143], v[10:11]
	v_mul_f64 v[227:228], v[187:188], s[0:1]
	v_mul_f64 v[231:232], v[187:188], s[2:3]
	;; [unrolled: 1-line block ×4, first 2 shown]
	v_add_f64 v[151:152], v[138:139], -v[126:127]
	v_add_f64 v[112:113], v[136:137], -v[122:123]
	v_add_f64 v[116:117], v[136:137], v[122:123]
	v_fma_f64 v[183:184], v[100:101], v[84:85], -v[147:148]
	v_mul_f64 v[201:202], v[124:125], s[2:3]
	v_mul_f64 v[203:204], v[120:121], s[2:3]
	;; [unrolled: 1-line block ×4, first 2 shown]
	v_fma_f64 v[185:186], v[102:103], v[84:85], v[149:150]
	v_fma_f64 v[179:180], v[104:105], v[80:81], -v[153:154]
	v_add_f64 v[171:172], v[138:139], v[126:127]
	v_add_f64 v[118:119], v[173:174], -v[161:162]
	v_add_f64 v[157:158], v[175:176], -v[163:164]
	v_add_f64 v[153:154], v[173:174], v[161:162]
	v_fma_f64 v[155:156], v[223:224], s[6:7], v[227:228]
	v_fma_f64 v[195:196], v[223:224], s[12:13], v[231:232]
	v_fma_f64 v[177:178], v[225:226], s[6:7], -v[229:230]
	v_fma_f64 v[205:206], v[225:226], s[12:13], -v[233:234]
	v_mul_f64 v[207:208], v[151:152], s[14:15]
	v_mul_f64 v[211:212], v[112:113], s[14:15]
	;; [unrolled: 1-line block ×4, first 2 shown]
	v_fma_f64 v[100:101], v[114:115], s[12:13], v[201:202]
	v_fma_f64 v[102:103], v[159:160], s[12:13], -v[203:204]
	v_fma_f64 v[104:105], v[114:115], s[18:19], v[189:190]
	v_fma_f64 v[106:107], v[159:160], s[18:19], -v[193:194]
	v_add_f64 v[147:148], v[185:186], -v[181:182]
	v_add_f64 v[149:150], v[183:184], -v[179:180]
	v_mul_f64 v[217:218], v[118:119], s[16:17]
	v_mul_f64 v[215:216], v[157:158], s[16:17]
	;; [unrolled: 1-line block ×3, first 2 shown]
	v_add_f64 v[155:156], v[108:109], v[155:156]
	v_add_f64 v[195:196], v[108:109], v[195:196]
	;; [unrolled: 1-line block ×5, first 2 shown]
	v_mul_f64 v[205:206], v[157:158], s[30:31]
	v_fma_f64 v[244:245], v[116:117], s[24:25], v[207:208]
	v_fma_f64 v[246:247], v[171:172], s[24:25], -v[211:212]
	v_fma_f64 v[248:249], v[116:117], s[22:23], v[197:198]
	v_fma_f64 v[250:251], v[171:172], s[22:23], -v[199:200]
	v_mul_f64 v[219:220], v[147:148], s[28:29]
	v_mul_f64 v[221:222], v[149:150], s[28:29]
	v_fma_f64 v[252:253], v[153:154], s[18:19], v[215:216]
	v_add_f64 v[100:101], v[100:101], v[155:156]
	v_add_f64 v[104:105], v[104:105], v[195:196]
	;; [unrolled: 1-line block ×6, first 2 shown]
	v_mul_f64 v[195:196], v[147:148], s[26:27]
	v_mul_f64 v[213:214], v[149:150], s[26:27]
	v_fma_f64 v[254:255], v[177:178], s[18:19], -v[217:218]
	v_fma_f64 v[240:241], v[153:154], s[24:25], v[205:206]
	v_fma_f64 v[134:135], v[177:178], s[24:25], -v[209:210]
	v_add_f64 v[100:101], v[244:245], v[100:101]
	v_add_f64 v[104:105], v[248:249], v[104:105]
	v_add_f64 v[102:103], v[246:247], v[102:103]
	v_add_f64 v[106:107], v[250:251], v[106:107]
	v_fma_f64 v[244:245], v[155:156], s[22:23], v[219:220]
	v_fma_f64 v[246:247], v[165:166], s[22:23], -v[221:222]
	v_fma_f64 v[248:249], v[155:156], s[6:7], v[195:196]
	v_fma_f64 v[250:251], v[165:166], s[6:7], -v[213:214]
	v_add_f64 v[100:101], v[252:253], v[100:101]
	v_add_f64 v[240:241], v[240:241], v[104:105]
	;; [unrolled: 1-line block ×8, first 2 shown]
	s_and_saveexec_b32 s33, vcc_lo
	s_cbranch_execz .LBB0_5
; %bb.4:
	v_mul_f64 v[134:135], v[225:226], s[12:13]
	v_mul_f64 v[240:241], v[225:226], s[18:19]
	s_mov_b32 s35, 0x3fe82f19
	s_mov_b32 s34, s16
	v_mul_f64 v[250:251], v[187:188], s[16:17]
	v_add_f64 v[128:129], v[108:109], v[169:170]
	s_mov_b32 s37, 0x3fed1bb4
	s_mov_b32 s36, s2
	v_mov_b32_e32 v5, v1
	v_mul_f64 v[130:131], v[165:166], s[24:25]
	v_mov_b32_e32 v4, v0
	v_mul_f64 v[0:1], v[147:148], s[14:15]
	v_add_f64 v[134:135], v[233:234], v[134:135]
	v_mul_f64 v[233:234], v[225:226], s[6:7]
	v_fma_f64 v[246:247], v[191:192], s[34:35], v[240:241]
	v_fma_f64 v[240:241], v[191:192], s[16:17], v[240:241]
	;; [unrolled: 1-line block ×3, first 2 shown]
	v_fma_f64 v[250:251], v[223:224], s[18:19], -v[250:251]
	v_add_f64 v[128:129], v[128:129], v[140:141]
	v_mul_f64 v[140:141], v[155:156], s[6:7]
	v_add_f64 v[134:135], v[110:111], v[134:135]
	v_add_f64 v[229:230], v[229:230], v[233:234]
	v_mul_f64 v[233:234], v[223:224], s[6:7]
	v_add_f64 v[6:7], v[110:111], v[246:247]
	v_add_f64 v[240:241], v[110:111], v[240:241]
	;; [unrolled: 1-line block ×4, first 2 shown]
	v_mul_f64 v[136:137], v[159:160], s[22:23]
	v_add_f64 v[140:141], v[140:141], -v[195:196]
	buffer_store_dword v6, off, s[40:43], 0 offset:64 ; 4-byte Folded Spill
	buffer_store_dword v7, off, s[40:43], 0 offset:68 ; 4-byte Folded Spill
	v_add_f64 v[227:228], v[233:234], -v[227:228]
	v_mul_f64 v[233:234], v[223:224], s[12:13]
	v_add_f64 v[6:7], v[108:109], v[254:255]
	v_add_f64 v[229:230], v[110:111], v[229:230]
	;; [unrolled: 1-line block ×3, first 2 shown]
	v_mul_f64 v[173:174], v[124:125], s[20:21]
	buffer_store_dword v6, off, s[40:43], 0 offset:56 ; 4-byte Folded Spill
	buffer_store_dword v7, off, s[40:43], 0 offset:60 ; 4-byte Folded Spill
	v_add_f64 v[231:232], v[233:234], -v[231:232]
	v_mul_f64 v[233:234], v[225:226], s[22:23]
	v_mul_f64 v[225:226], v[225:226], s[24:25]
	v_add_f64 v[227:228], v[108:109], v[227:228]
	v_add_f64 v[128:129], v[128:129], v[183:184]
	v_add_f64 v[231:232], v[108:109], v[231:232]
	v_fma_f64 v[244:245], v[191:192], s[20:21], v[233:234]
	v_fma_f64 v[233:234], v[191:192], s[28:29], v[233:234]
	;; [unrolled: 1-line block ×4, first 2 shown]
	v_mul_f64 v[225:226], v[187:188], s[28:29]
	v_mul_f64 v[187:188], v[187:188], s[14:15]
	v_add_f64 v[128:129], v[128:129], v[179:180]
	v_mul_f64 v[179:180], v[151:152], s[36:37]
	v_add_f64 v[233:234], v[110:111], v[233:234]
	v_add_f64 v[248:249], v[110:111], v[248:249]
	;; [unrolled: 1-line block ×3, first 2 shown]
	v_fma_f64 v[252:253], v[223:224], s[22:23], v[225:226]
	v_fma_f64 v[225:226], v[223:224], s[22:23], -v[225:226]
	v_fma_f64 v[132:133], v[223:224], s[24:25], -v[187:188]
	v_fma_f64 v[187:188], v[223:224], s[24:25], v[187:188]
	v_add_f64 v[223:224], v[110:111], v[167:168]
	v_add_f64 v[167:168], v[110:111], v[244:245]
	v_mov_b32_e32 v245, v243
	v_add_f64 v[128:129], v[128:129], v[161:162]
	v_mul_f64 v[161:162], v[177:178], s[6:7]
	v_add_f64 v[169:170], v[108:109], v[252:253]
	v_mul_f64 v[252:253], v[159:160], s[6:7]
	v_add_f64 v[225:226], v[108:109], v[225:226]
	v_add_f64 v[132:133], v[108:109], v[132:133]
	;; [unrolled: 1-line block ×4, first 2 shown]
	buffer_store_dword v6, off, s[40:43], 0 offset:72 ; 4-byte Folded Spill
	buffer_store_dword v7, off, s[40:43], 0 offset:76 ; 4-byte Folded Spill
	v_fma_f64 v[108:109], v[120:121], s[0:1], v[252:253]
	v_mov_b32_e32 v7, v3
	v_mov_b32_e32 v6, v2
	v_fma_f64 v[2:3], v[155:156], s[24:25], v[0:1]
	v_add_f64 v[138:139], v[142:143], v[138:139]
	v_fma_f64 v[0:1], v[155:156], s[24:25], -v[0:1]
	v_fma_f64 v[142:143], v[120:121], s[20:21], v[136:137]
	v_add_f64 v[122:123], v[128:129], v[122:123]
	v_mul_f64 v[128:129], v[159:160], s[24:25]
	v_add_f64 v[108:109], v[108:109], v[167:168]
	v_mul_f64 v[167:168], v[124:125], s[26:27]
	v_mul_f64 v[124:125], v[124:125], s[30:31]
	v_add_f64 v[138:139], v[138:139], v[175:176]
	v_fma_f64 v[175:176], v[114:115], s[22:23], -v[173:174]
	v_add_f64 v[142:143], v[142:143], v[248:249]
	v_fma_f64 v[110:111], v[114:115], s[6:7], v[167:168]
	v_fma_f64 v[167:168], v[114:115], s[6:7], -v[167:168]
	v_add_f64 v[138:139], v[138:139], v[185:186]
	v_add_f64 v[132:133], v[175:176], v[132:133]
	v_mul_f64 v[175:176], v[171:172], s[12:13]
	v_add_f64 v[110:111], v[110:111], v[169:170]
	v_mul_f64 v[169:170], v[171:172], s[18:19]
	v_add_f64 v[167:168], v[167:168], v[225:226]
	v_add_f64 v[138:139], v[138:139], v[181:182]
	v_fma_f64 v[181:182], v[116:117], s[12:13], -v[179:180]
	v_fma_f64 v[183:184], v[112:113], s[36:37], v[175:176]
	v_fma_f64 v[254:255], v[112:113], s[34:35], v[169:170]
	;; [unrolled: 1-line block ×3, first 2 shown]
	v_add_f64 v[138:139], v[138:139], v[163:164]
	v_fma_f64 v[163:164], v[118:119], s[0:1], v[161:162]
	v_add_f64 v[142:143], v[183:184], v[142:143]
	v_add_f64 v[132:133], v[181:182], v[132:133]
	;; [unrolled: 1-line block ×3, first 2 shown]
	v_mul_f64 v[254:255], v[151:152], s[16:17]
	v_add_f64 v[126:127], v[138:139], v[126:127]
	v_fma_f64 v[138:139], v[120:121], s[30:31], v[128:129]
	v_add_f64 v[142:143], v[163:164], v[142:143]
	v_mul_f64 v[163:164], v[171:172], s[6:7]
	v_fma_f64 v[128:129], v[120:121], s[14:15], v[128:129]
	v_fma_f64 v[246:247], v[116:117], s[18:19], v[254:255]
	v_add_f64 v[126:127], v[126:127], v[10:11]
	v_add_f64 v[138:139], v[138:139], v[240:241]
	;; [unrolled: 1-line block ×3, first 2 shown]
	v_mul_f64 v[246:247], v[177:178], s[12:13]
	v_fma_f64 v[187:188], v[118:119], s[2:3], v[246:247]
	v_add_f64 v[108:109], v[187:188], v[108:109]
	v_mul_f64 v[187:188], v[157:158], s[36:37]
	v_fma_f64 v[243:244], v[153:154], s[12:13], v[187:188]
	v_add_f64 v[243:244], v[243:244], v[110:111]
	v_fma_f64 v[110:111], v[149:150], s[30:31], v[130:131]
	v_fma_f64 v[130:131], v[149:150], s[14:15], v[130:131]
	v_add_f64 v[110:111], v[110:111], v[108:109]
	v_add_f64 v[108:109], v[2:3], v[243:244]
	v_fma_f64 v[2:3], v[120:121], s[26:27], v[252:253]
	v_fma_f64 v[120:121], v[120:121], s[28:29], v[136:137]
	v_mov_b32_e32 v243, v245
	v_add_f64 v[2:3], v[2:3], v[233:234]
	v_add_f64 v[120:121], v[120:121], v[191:192]
	v_add_f64 v[2:3], v[169:170], v[2:3]
	v_fma_f64 v[169:170], v[116:117], s[18:19], -v[254:255]
	v_add_f64 v[167:168], v[169:170], v[167:168]
	v_fma_f64 v[169:170], v[118:119], s[36:37], v[246:247]
	v_add_f64 v[2:3], v[169:170], v[2:3]
	v_fma_f64 v[169:170], v[153:154], s[12:13], -v[187:188]
	v_mul_f64 v[187:188], v[116:117], s[24:25]
	v_add_f64 v[167:168], v[169:170], v[167:168]
	v_add_f64 v[169:170], v[130:131], v[2:3]
	v_mul_f64 v[130:131], v[171:172], s[24:25]
	v_mul_f64 v[2:3], v[114:115], s[12:13]
	v_add_f64 v[187:188], v[187:188], -v[207:208]
	v_mul_f64 v[207:208], v[165:166], s[22:23]
	v_add_f64 v[167:168], v[0:1], v[167:168]
	v_mul_f64 v[0:1], v[159:160], s[12:13]
	v_add_f64 v[130:131], v[211:212], v[130:131]
	v_add_f64 v[2:3], v[2:3], -v[201:202]
	v_mul_f64 v[201:202], v[177:178], s[18:19]
	v_add_f64 v[207:208], v[221:222], v[207:208]
	v_mul_f64 v[211:212], v[155:156], s[22:23]
	v_add_f64 v[0:1], v[203:204], v[0:1]
	;; [unrolled: 2-line block ×3, first 2 shown]
	v_add_f64 v[201:202], v[217:218], v[201:202]
	v_add_f64 v[211:212], v[211:212], -v[219:220]
	v_add_f64 v[0:1], v[0:1], v[229:230]
	v_add_f64 v[203:204], v[203:204], -v[215:216]
	v_mul_f64 v[215:216], v[159:160], s[18:19]
	v_fma_f64 v[159:160], v[114:115], s[24:25], -v[124:125]
	v_fma_f64 v[124:125], v[114:115], s[24:25], v[124:125]
	v_add_f64 v[2:3], v[187:188], v[2:3]
	v_add_f64 v[0:1], v[130:131], v[0:1]
	;; [unrolled: 1-line block ×3, first 2 shown]
	v_mul_f64 v[215:216], v[114:115], s[18:19]
	v_add_f64 v[159:160], v[159:160], v[250:251]
	v_fma_f64 v[114:115], v[114:115], s[22:23], v[173:174]
	v_add_f64 v[2:3], v[203:204], v[2:3]
	v_add_f64 v[0:1], v[201:202], v[0:1]
	;; [unrolled: 1-line block ×3, first 2 shown]
	v_add_f64 v[189:190], v[215:216], -v[189:190]
	v_mul_f64 v[215:216], v[171:172], s[22:23]
	v_fma_f64 v[171:172], v[112:113], s[0:1], v[163:164]
	v_fma_f64 v[163:164], v[112:113], s[26:27], v[163:164]
	;; [unrolled: 1-line block ×3, first 2 shown]
	v_mul_f64 v[193:194], v[165:166], s[6:7]
	v_add_f64 v[189:190], v[189:190], v[231:232]
	v_add_f64 v[199:200], v[199:200], v[215:216]
	;; [unrolled: 1-line block ×3, first 2 shown]
	v_mul_f64 v[171:172], v[157:158], s[0:1]
	v_mul_f64 v[215:216], v[116:117], s[22:23]
	;; [unrolled: 1-line block ×3, first 2 shown]
	v_add_f64 v[112:113], v[112:113], v[120:121]
	v_add_f64 v[193:194], v[213:214], v[193:194]
	;; [unrolled: 1-line block ×3, first 2 shown]
	v_fma_f64 v[181:182], v[153:154], s[6:7], -v[171:172]
	v_add_f64 v[197:198], v[215:216], -v[197:198]
	v_mul_f64 v[215:216], v[177:178], s[24:25]
	v_fma_f64 v[120:121], v[153:154], s[6:7], v[171:172]
	v_add_f64 v[132:133], v[181:182], v[132:133]
	v_add_f64 v[181:182], v[122:123], v[6:7]
	s_clause 0x1
	buffer_load_dword v6, off, s[40:43], 0 offset:64
	buffer_load_dword v7, off, s[40:43], 0 offset:68
	v_mul_f64 v[122:123], v[151:152], s[0:1]
	v_add_f64 v[209:210], v[209:210], v[215:216]
	v_mul_f64 v[215:216], v[153:154], s[24:25]
	v_add_f64 v[134:135], v[197:198], v[189:190]
	v_fma_f64 v[151:152], v[116:117], s[6:7], -v[122:123]
	v_fma_f64 v[122:123], v[116:117], s[6:7], v[122:123]
	v_fma_f64 v[116:117], v[116:117], s[12:13], v[179:180]
	v_add_f64 v[205:206], v[215:216], -v[205:206]
	v_add_f64 v[130:131], v[209:210], v[130:131]
	v_add_f64 v[151:152], v[151:152], v[159:160]
	v_mul_f64 v[159:160], v[177:178], s[22:23]
	v_add_f64 v[134:135], v[205:206], v[134:135]
	v_fma_f64 v[177:178], v[118:119], s[28:29], v[159:160]
	v_add_f64 v[138:139], v[177:178], v[138:139]
	v_fma_f64 v[177:178], v[153:154], s[22:23], -v[157:158]
	v_add_f64 v[151:152], v[177:178], v[151:152]
	s_waitcnt vmcnt(0)
	v_add_f64 v[128:129], v[128:129], v[6:7]
	s_clause 0x1
	buffer_load_dword v6, off, s[40:43], 0 offset:56
	buffer_load_dword v7, off, s[40:43], 0 offset:60
	v_add_f64 v[128:129], v[163:164], v[128:129]
	s_waitcnt vmcnt(0)
	v_add_f64 v[124:125], v[124:125], v[6:7]
	s_clause 0x1
	buffer_load_dword v6, off, s[40:43], 0 offset:72
	buffer_load_dword v7, off, s[40:43], 0 offset:76
	v_add_f64 v[122:123], v[122:123], v[124:125]
	v_fma_f64 v[124:125], v[118:119], s[20:21], v[159:160]
	v_fma_f64 v[118:119], v[118:119], s[26:27], v[161:162]
	v_add_f64 v[136:137], v[124:125], v[128:129]
	v_fma_f64 v[124:125], v[153:154], s[22:23], v[157:158]
	v_add_f64 v[161:162], v[118:119], v[112:113]
	v_mul_f64 v[112:113], v[147:148], s[36:37]
	v_add_f64 v[118:119], v[193:194], v[130:131]
	v_add_f64 v[157:158], v[124:125], v[122:123]
	v_mul_f64 v[122:123], v[165:166], s[12:13]
	v_mul_f64 v[124:125], v[165:166], s[18:19]
	v_fma_f64 v[163:164], v[155:156], s[12:13], v[112:113]
	v_fma_f64 v[128:129], v[149:150], s[36:37], v[122:123]
	;; [unrolled: 1-line block ×5, first 2 shown]
	v_add_f64 v[122:123], v[126:127], v[4:5]
	v_add_f64 v[130:131], v[128:129], v[138:139]
	v_add_f64 v[126:127], v[159:160], v[142:143]
	v_add_f64 v[138:139], v[149:150], v[161:162]
	s_waitcnt vmcnt(0)
	v_add_f64 v[114:115], v[114:115], v[6:7]
	v_add_f64 v[114:115], v[116:117], v[114:115]
	v_mul_f64 v[116:117], v[147:148], s[16:17]
	v_fma_f64 v[147:148], v[155:156], s[12:13], -v[112:113]
	v_add_f64 v[112:113], v[211:212], v[2:3]
	v_add_f64 v[165:166], v[120:121], v[114:115]
	;; [unrolled: 1-line block ×3, first 2 shown]
	buffer_load_dword v0, off, s[40:43], 0 offset:16 ; 4-byte Folded Reload
	v_fma_f64 v[124:125], v[155:156], s[18:19], -v[116:117]
	v_fma_f64 v[155:156], v[155:156], s[18:19], v[116:117]
	v_add_f64 v[120:121], v[181:182], v[8:9]
	v_add_f64 v[116:117], v[140:141], v[134:135]
	;; [unrolled: 1-line block ×7, first 2 shown]
	s_waitcnt vmcnt(0)
	v_lshl_add_u32 v0, v243, 4, v0
	ds_write_b128 v236, v[120:123]
	ds_write_b128 v0, v[112:115] offset:432
	ds_write_b128 v0, v[116:119] offset:864
	;; [unrolled: 1-line block ×10, first 2 shown]
.LBB0_5:
	s_or_b32 exec_lo, exec_lo, s33
	v_add_co_u32 v0, s0, 0x1290, v238
	v_add_co_ci_u32_e64 v1, s0, 0, v239, s0
	v_add_co_u32 v2, s0, 0x1800, v238
	v_add_co_ci_u32_e64 v3, s0, 0, v239, s0
	s_waitcnt lgkmcnt(0)
	s_waitcnt_vscnt null, 0x0
	s_barrier
	buffer_gl0_inv
	s_clause 0x4
	global_load_dwordx4 v[108:111], v[145:146], off offset:656
	global_load_dwordx4 v[112:115], v[0:1], off offset:528
	;; [unrolled: 1-line block ×5, first 2 shown]
	v_add_co_u32 v0, s0, 0x2000, v238
	v_add_co_ci_u32_e64 v1, s0, 0, v239, s0
	s_clause 0x3
	global_load_dwordx4 v[128:131], v[2:3], off offset:1248
	global_load_dwordx4 v[132:135], v[2:3], off offset:1776
	global_load_dwordx4 v[136:139], v[0:1], off offset:256
	global_load_dwordx4 v[140:143], v[0:1], off offset:784
	ds_read_b128 v[145:148], v236
	ds_read_b128 v[149:152], v236 offset:528
	ds_read_b128 v[153:156], v236 offset:1056
	;; [unrolled: 1-line block ×8, first 2 shown]
	s_mov_b32 s2, 0x8c811c17
	s_mov_b32 s0, 0xa2cf5039
	;; [unrolled: 1-line block ×8, first 2 shown]
	s_waitcnt vmcnt(8) lgkmcnt(8)
	v_mul_f64 v[0:1], v[147:148], v[110:111]
	v_mul_f64 v[2:3], v[145:146], v[110:111]
	s_waitcnt vmcnt(7) lgkmcnt(7)
	v_mul_f64 v[110:111], v[151:152], v[114:115]
	v_mul_f64 v[114:115], v[149:150], v[114:115]
	;; [unrolled: 3-line block ×9, first 2 shown]
	v_fma_f64 v[145:146], v[145:146], v[108:109], -v[0:1]
	v_fma_f64 v[147:148], v[147:148], v[108:109], v[2:3]
	v_fma_f64 v[108:109], v[149:150], v[112:113], -v[110:111]
	v_fma_f64 v[110:111], v[151:152], v[112:113], v[114:115]
	;; [unrolled: 2-line block ×9, first 2 shown]
	ds_write_b128 v236, v[145:148]
	ds_write_b128 v236, v[108:111] offset:528
	ds_write_b128 v236, v[112:115] offset:1056
	ds_write_b128 v236, v[116:119] offset:1584
	ds_write_b128 v236, v[120:123] offset:2112
	ds_write_b128 v236, v[124:127] offset:2640
	ds_write_b128 v236, v[128:131] offset:3168
	ds_write_b128 v236, v[132:135] offset:3696
	ds_write_b128 v236, v[136:139] offset:4224
	s_waitcnt lgkmcnt(0)
	s_barrier
	buffer_gl0_inv
	ds_read_b128 v[108:111], v236 offset:528
	ds_read_b128 v[112:115], v236 offset:4224
	;; [unrolled: 1-line block ×6, first 2 shown]
	ds_read_b128 v[132:135], v236
	s_waitcnt lgkmcnt(5)
	v_add_f64 v[0:1], v[108:109], -v[112:113]
	v_add_f64 v[2:3], v[110:111], -v[114:115]
	v_add_f64 v[136:137], v[108:109], v[112:113]
	v_add_f64 v[138:139], v[110:111], v[114:115]
	s_waitcnt lgkmcnt(3)
	v_add_f64 v[140:141], v[116:117], v[120:121]
	v_add_f64 v[142:143], v[118:119], v[122:123]
	v_add_f64 v[145:146], v[116:117], -v[120:121]
	v_add_f64 v[147:148], v[118:119], -v[122:123]
	s_waitcnt lgkmcnt(1)
	v_add_f64 v[149:150], v[128:129], v[124:125]
	v_add_f64 v[151:152], v[130:131], v[126:127]
	ds_read_b128 v[108:111], v236 offset:1584
	ds_read_b128 v[112:115], v236 offset:3168
	v_add_f64 v[124:125], v[128:129], -v[124:125]
	v_add_f64 v[126:127], v[130:131], -v[126:127]
	s_waitcnt lgkmcnt(0)
	s_barrier
	buffer_gl0_inv
	v_mul_f64 v[128:129], v[0:1], s[6:7]
	v_mul_f64 v[130:131], v[2:3], s[6:7]
	v_fma_f64 v[153:154], v[136:137], s[0:1], v[132:133]
	v_fma_f64 v[155:156], v[138:139], s[0:1], v[134:135]
	s_mov_b32 s7, 0xbfe491b7
	v_fma_f64 v[157:158], v[140:141], s[0:1], v[132:133]
	v_fma_f64 v[159:160], v[142:143], s[0:1], v[134:135]
	v_mul_f64 v[161:162], v[145:146], s[2:3]
	v_mul_f64 v[163:164], v[147:148], s[2:3]
	v_fma_f64 v[165:166], v[149:150], s[0:1], v[132:133]
	v_fma_f64 v[167:168], v[151:152], s[0:1], v[134:135]
	v_mul_f64 v[169:170], v[147:148], s[6:7]
	v_mul_f64 v[171:172], v[145:146], s[6:7]
	v_add_f64 v[173:174], v[108:109], v[112:113]
	v_add_f64 v[175:176], v[110:111], v[114:115]
	;; [unrolled: 1-line block ×4, first 2 shown]
	v_add_f64 v[108:109], v[108:109], -v[112:113]
	v_add_f64 v[110:111], v[110:111], -v[114:115]
	s_mov_b32 s1, 0x3febb67a
	s_mov_b32 s0, 0xe8584cab
	v_fma_f64 v[112:113], v[124:125], s[2:3], v[128:129]
	v_fma_f64 v[114:115], v[126:127], s[2:3], v[130:131]
	;; [unrolled: 1-line block ×6, first 2 shown]
	v_fma_f64 v[157:158], v[124:125], s[6:7], -v[161:162]
	v_fma_f64 v[159:160], v[126:127], s[6:7], -v[163:164]
	v_fma_f64 v[161:162], v[140:141], s[12:13], v[165:166]
	v_fma_f64 v[163:164], v[142:143], s[12:13], v[167:168]
	;; [unrolled: 1-line block ×4, first 2 shown]
	v_add_f64 v[169:170], v[145:146], v[0:1]
	v_add_f64 v[171:172], v[147:148], v[2:3]
	;; [unrolled: 1-line block ×8, first 2 shown]
	s_mov_b32 s3, 0xbfebb67a
	s_mov_b32 s2, s0
	v_fma_f64 v[112:113], v[108:109], s[0:1], v[112:113]
	v_fma_f64 v[114:115], v[110:111], s[0:1], v[114:115]
	v_fma_f64 v[128:129], v[173:174], -0.5, v[128:129]
	v_fma_f64 v[130:131], v[175:176], -0.5, v[130:131]
	;; [unrolled: 1-line block ×4, first 2 shown]
	v_fma_f64 v[157:158], v[108:109], s[0:1], v[157:158]
	v_fma_f64 v[159:160], v[110:111], s[0:1], v[159:160]
	v_fma_f64 v[161:162], v[173:174], -0.5, v[161:162]
	v_fma_f64 v[163:164], v[175:176], -0.5, v[163:164]
	v_fma_f64 v[110:111], v[110:111], s[2:3], v[165:166]
	v_fma_f64 v[108:109], v[108:109], s[2:3], v[167:168]
	s_mov_b32 s6, 0x748a0bf8
	s_mov_b32 s12, 0x42522d1b
	;; [unrolled: 1-line block ×4, first 2 shown]
	v_add_f64 v[116:117], v[116:117], v[177:178]
	v_add_f64 v[118:119], v[118:119], v[179:180]
	v_add_f64 v[165:166], v[169:170], -v[124:125]
	v_add_f64 v[167:168], v[171:172], -v[126:127]
	v_fma_f64 v[169:170], v[185:186], -0.5, v[181:182]
	v_fma_f64 v[171:172], v[187:188], -0.5, v[183:184]
	v_fma_f64 v[145:146], v[145:146], s[6:7], v[112:113]
	v_fma_f64 v[147:148], v[147:148], s[6:7], v[114:115]
	;; [unrolled: 1-line block ×12, first 2 shown]
	v_add_f64 v[149:150], v[120:121], v[116:117]
	v_add_f64 v[151:152], v[122:123], v[118:119]
	v_mul_f64 v[126:127], v[165:166], s[0:1]
	v_mul_f64 v[124:125], v[167:168], s[0:1]
	v_fma_f64 v[108:109], v[167:168], s[2:3], v[169:170]
	v_fma_f64 v[110:111], v[165:166], s[0:1], v[171:172]
	s_mov_b32 s2, 0xe8584caa
	v_add_f64 v[112:113], v[112:113], -v[147:148]
	v_add_f64 v[114:115], v[145:146], v[114:115]
	s_mov_b32 s0, s2
	v_add_f64 v[116:117], v[136:137], -v[2:3]
	v_add_f64 v[118:119], v[0:1], v[138:139]
	v_add_f64 v[120:121], v[128:129], -v[140:141]
	v_add_f64 v[122:123], v[142:143], v[130:131]
	v_add_f64 v[128:129], v[132:133], v[149:150]
	;; [unrolled: 1-line block ×3, first 2 shown]
	v_fma_f64 v[124:125], v[124:125], 2.0, v[108:109]
	v_fma_f64 v[126:127], v[126:127], -2.0, v[110:111]
	v_fma_f64 v[132:133], v[147:148], 2.0, v[112:113]
	v_fma_f64 v[134:135], v[145:146], -2.0, v[114:115]
	;; [unrolled: 2-line block ×4, first 2 shown]
	ds_write_b128 v242, v[108:111] offset:48
	ds_write_b128 v242, v[128:131]
	ds_write_b128 v242, v[112:115] offset:16
	ds_write_b128 v242, v[116:119] offset:64
	;; [unrolled: 1-line block ×7, first 2 shown]
	s_waitcnt lgkmcnt(0)
	s_barrier
	buffer_gl0_inv
	ds_read_b128 v[108:111], v236 offset:1584
	ds_read_b128 v[112:115], v236 offset:3168
	;; [unrolled: 1-line block ×7, first 2 shown]
	s_waitcnt lgkmcnt(6)
	v_mul_f64 v[0:1], v[54:55], v[110:111]
	s_waitcnt lgkmcnt(5)
	v_mul_f64 v[2:3], v[50:51], v[114:115]
	v_mul_f64 v[54:55], v[54:55], v[108:109]
	v_mul_f64 v[50:51], v[50:51], v[112:113]
	s_waitcnt lgkmcnt(4)
	v_mul_f64 v[136:137], v[46:47], v[118:119]
	s_waitcnt lgkmcnt(3)
	v_mul_f64 v[138:139], v[42:43], v[122:123]
	v_mul_f64 v[46:47], v[46:47], v[116:117]
	v_mul_f64 v[42:43], v[42:43], v[120:121]
	;; [unrolled: 6-line block ×3, first 2 shown]
	v_fma_f64 v[0:1], v[52:53], v[108:109], v[0:1]
	v_fma_f64 v[2:3], v[48:49], v[112:113], v[2:3]
	v_fma_f64 v[52:53], v[52:53], v[110:111], -v[54:55]
	v_fma_f64 v[48:49], v[48:49], v[114:115], -v[50:51]
	v_fma_f64 v[50:51], v[44:45], v[116:117], v[136:137]
	v_fma_f64 v[54:55], v[40:41], v[120:121], v[138:139]
	v_fma_f64 v[108:109], v[44:45], v[118:119], -v[46:47]
	v_fma_f64 v[110:111], v[40:41], v[122:123], -v[42:43]
	;; [unrolled: 4-line block ×3, first 2 shown]
	ds_read_b128 v[40:43], v236
	ds_read_b128 v[44:47], v236 offset:528
	s_waitcnt lgkmcnt(0)
	s_barrier
	buffer_gl0_inv
	v_add_f64 v[58:59], v[0:1], v[2:3]
	v_add_f64 v[62:63], v[52:53], v[48:49]
	v_add_f64 v[126:127], v[52:53], -v[48:49]
	v_add_f64 v[116:117], v[50:51], v[54:55]
	v_add_f64 v[145:146], v[50:51], -v[54:55]
	;; [unrolled: 2-line block ×3, first 2 shown]
	v_add_f64 v[124:125], v[40:41], v[0:1]
	v_add_f64 v[52:53], v[42:43], v[52:53]
	;; [unrolled: 1-line block ×3, first 2 shown]
	v_add_f64 v[0:1], v[0:1], -v[2:3]
	v_add_f64 v[138:139], v[134:135], v[60:61]
	v_add_f64 v[128:129], v[44:45], v[50:51]
	;; [unrolled: 1-line block ×3, first 2 shown]
	v_add_f64 v[147:148], v[60:61], -v[56:57]
	v_add_f64 v[120:121], v[112:113], v[114:115]
	v_add_f64 v[136:137], v[132:133], v[112:113]
	v_fma_f64 v[58:59], v[58:59], -0.5, v[40:41]
	v_fma_f64 v[140:141], v[62:63], -0.5, v[42:43]
	;; [unrolled: 1-line block ×4, first 2 shown]
	v_add_f64 v[40:41], v[124:125], v[2:3]
	v_add_f64 v[42:43], v[52:53], v[48:49]
	;; [unrolled: 1-line block ×5, first 2 shown]
	v_fma_f64 v[122:123], v[122:123], -0.5, v[134:135]
	v_fma_f64 v[120:121], v[120:121], -0.5, v[132:133]
	v_add_f64 v[132:133], v[112:113], -v[114:115]
	v_add_f64 v[60:61], v[136:137], v[114:115]
	v_fma_f64 v[108:109], v[126:127], s[2:3], v[58:59]
	v_fma_f64 v[56:57], v[126:127], s[0:1], v[58:59]
	;; [unrolled: 1-line block ×8, first 2 shown]
	ds_write_b128 v237, v[40:43]
	ds_write_b128 v237, v[108:111] offset:144
	ds_write_b128 v237, v[56:59] offset:288
	ds_write_b128 v235, v[44:47]
	ds_write_b128 v235, v[48:51] offset:144
	ds_write_b128 v235, v[52:55] offset:288
	buffer_load_dword v0, off, s[40:43], 0 offset:20 ; 4-byte Folded Reload
	v_fma_f64 v[112:113], v[147:148], s[2:3], v[120:121]
	v_fma_f64 v[116:117], v[147:148], s[0:1], v[120:121]
	;; [unrolled: 1-line block ×4, first 2 shown]
	s_waitcnt vmcnt(0)
	ds_write_b128 v0, v[60:63]
	ds_write_b128 v0, v[112:115] offset:144
	ds_write_b128 v0, v[116:119] offset:288
	s_waitcnt lgkmcnt(0)
	s_barrier
	buffer_gl0_inv
	s_and_saveexec_b32 s0, vcc_lo
	s_cbranch_execz .LBB0_7
; %bb.6:
	ds_read_b128 v[40:43], v236
	ds_read_b128 v[108:111], v236 offset:432
	ds_read_b128 v[56:59], v236 offset:864
	;; [unrolled: 1-line block ×10, first 2 shown]
.LBB0_7:
	s_or_b32 exec_lo, exec_lo, s0
	s_and_saveexec_b32 s33, vcc_lo
	s_cbranch_execz .LBB0_9
; %bb.8:
	s_waitcnt lgkmcnt(9)
	v_mul_f64 v[0:1], v[38:39], v[110:111]
	s_waitcnt lgkmcnt(0)
	v_mul_f64 v[2:3], v[98:99], v[106:107]
	v_mul_f64 v[120:121], v[38:39], v[108:109]
	;; [unrolled: 1-line block ×13, first 2 shown]
	s_mov_b32 s22, 0xfd768dbf
	s_mov_b32 s23, 0xbfd207e7
	;; [unrolled: 1-line block ×8, first 2 shown]
	v_fma_f64 v[0:1], v[36:37], v[108:109], v[0:1]
	v_fma_f64 v[38:39], v[96:97], v[104:105], v[2:3]
	v_fma_f64 v[2:3], v[36:37], v[110:111], -v[120:121]
	v_fma_f64 v[36:37], v[96:97], v[106:107], -v[98:99]
	v_mul_f64 v[96:97], v[66:67], v[46:47]
	v_mul_f64 v[98:99], v[70:71], v[118:119]
	;; [unrolled: 1-line block ×4, first 2 shown]
	v_fma_f64 v[104:105], v[88:89], v[56:57], v[130:131]
	v_fma_f64 v[56:57], v[92:93], v[100:101], v[132:133]
	v_fma_f64 v[88:89], v[88:89], v[58:59], -v[90:91]
	v_fma_f64 v[58:59], v[92:93], v[102:103], -v[94:95]
	v_fma_f64 v[60:61], v[80:81], v[60:61], v[124:125]
	v_fma_f64 v[62:63], v[80:81], v[62:63], -v[82:83]
	v_fma_f64 v[48:49], v[76:77], v[48:49], v[126:127]
	v_fma_f64 v[80:81], v[72:73], v[112:113], v[128:129]
	v_fma_f64 v[50:51], v[76:77], v[50:51], -v[78:79]
	v_fma_f64 v[72:73], v[72:73], v[114:115], -v[74:75]
	v_mul_f64 v[122:123], v[86:87], v[54:55]
	v_mul_f64 v[86:87], v[86:87], v[52:53]
	s_mov_b32 s16, 0x43842ef
	s_mov_b32 s2, 0x7f775887
	;; [unrolled: 1-line block ×3, first 2 shown]
	v_add_f64 v[90:91], v[0:1], -v[38:39]
	v_add_f64 v[74:75], v[0:1], v[38:39]
	v_add_f64 v[92:93], v[2:3], -v[36:37]
	v_fma_f64 v[76:77], v[64:65], v[44:45], v[96:97]
	v_fma_f64 v[44:45], v[68:69], v[116:117], v[98:99]
	v_fma_f64 v[64:65], v[64:65], v[46:47], -v[66:67]
	v_fma_f64 v[46:47], v[68:69], v[118:119], -v[70:71]
	v_add_f64 v[70:71], v[2:3], v[36:37]
	v_add_f64 v[66:67], v[104:105], -v[56:57]
	v_add_f64 v[106:107], v[104:105], v[56:57]
	v_add_f64 v[68:69], v[88:89], -v[58:59]
	v_add_f64 v[96:97], v[88:89], v[58:59]
	v_add_f64 v[0:1], v[40:41], v[0:1]
	s_mov_b32 s17, 0xbfefac9e
	s_mov_b32 s3, 0xbfe4f49e
	;; [unrolled: 1-line block ×5, first 2 shown]
	v_fma_f64 v[54:55], v[84:85], v[54:55], -v[86:87]
	v_add_f64 v[86:87], v[48:49], -v[80:81]
	v_add_f64 v[100:101], v[50:51], -v[72:73]
	s_mov_b32 s0, 0x640f44db
	v_mul_f64 v[78:79], v[90:91], s[22:23]
	v_mul_f64 v[128:129], v[90:91], s[14:15]
	;; [unrolled: 1-line block ×4, first 2 shown]
	v_add_f64 v[94:95], v[76:77], -v[44:45]
	v_add_f64 v[126:127], v[76:77], v[44:45]
	v_add_f64 v[102:103], v[64:65], -v[46:47]
	v_add_f64 v[120:121], v[64:65], v[46:47]
	v_mul_f64 v[108:109], v[66:67], s[12:13]
	v_mul_f64 v[157:158], v[66:67], s[26:27]
	;; [unrolled: 1-line block ×3, first 2 shown]
	s_mov_b32 s1, 0xbfc2375f
	v_add_f64 v[0:1], v[0:1], v[104:105]
	s_mov_b32 s25, 0x3fed1bb4
	s_mov_b32 s24, 0x8eee2c13
	;; [unrolled: 1-line block ×6, first 2 shown]
	v_mul_f64 v[167:168], v[92:93], s[16:17]
	v_add_f64 v[114:115], v[50:51], v[72:73]
	v_add_f64 v[124:125], v[48:49], v[80:81]
	v_fma_f64 v[116:117], v[70:71], s[18:19], v[78:79]
	v_fma_f64 v[78:79], v[70:71], s[18:19], -v[78:79]
	v_fma_f64 v[118:119], v[74:75], s[18:19], -v[82:83]
	v_fma_f64 v[82:83], v[74:75], s[18:19], v[82:83]
	v_mul_f64 v[134:135], v[94:95], s[14:15]
	v_fma_f64 v[159:160], v[70:71], s[2:3], v[128:129]
	v_mul_f64 v[142:143], v[102:103], s[14:15]
	v_add_f64 v[2:3], v[42:43], v[2:3]
	v_fma_f64 v[145:146], v[96:97], s[6:7], v[108:109]
	v_fma_f64 v[108:109], v[96:97], s[6:7], -v[108:109]
	v_fma_f64 v[147:148], v[106:107], s[6:7], -v[110:111]
	v_fma_f64 v[110:111], v[106:107], s[6:7], v[110:111]
	v_mul_f64 v[132:133], v[86:87], s[24:25]
	v_mul_f64 v[138:139], v[100:101], s[24:25]
	;; [unrolled: 1-line block ×4, first 2 shown]
	v_fma_f64 v[177:178], v[96:97], s[0:1], v[157:158]
	v_add_f64 v[0:1], v[0:1], v[76:77]
	s_mov_b32 s20, 0xd9c712b6
	s_mov_b32 s21, 0x3fda9628
	v_fma_f64 v[52:53], v[84:85], v[52:53], v[122:123]
	v_fma_f64 v[181:182], v[74:75], s[0:1], -v[167:168]
	v_add_f64 v[116:117], v[42:43], v[116:117]
	v_add_f64 v[78:79], v[42:43], v[78:79]
	;; [unrolled: 1-line block ×4, first 2 shown]
	v_fma_f64 v[171:172], v[120:121], s[2:3], v[134:135]
	v_fma_f64 v[134:135], v[120:121], s[2:3], -v[134:135]
	v_fma_f64 v[175:176], v[126:127], s[2:3], -v[142:143]
	v_fma_f64 v[142:143], v[126:127], s[2:3], v[142:143]
	v_add_f64 v[159:160], v[42:43], v[159:160]
	v_mul_f64 v[151:152], v[86:87], s[22:23]
	v_mul_f64 v[165:166], v[68:69], s[26:27]
	;; [unrolled: 1-line block ×3, first 2 shown]
	v_fma_f64 v[128:129], v[70:71], s[2:3], -v[128:129]
	v_add_f64 v[2:3], v[2:3], v[88:89]
	v_fma_f64 v[173:174], v[74:75], s[2:3], -v[140:141]
	v_fma_f64 v[140:141], v[74:75], s[2:3], v[140:141]
	v_fma_f64 v[88:89], v[114:115], s[20:21], v[132:133]
	v_fma_f64 v[179:180], v[124:125], s[20:21], -v[138:139]
	v_fma_f64 v[132:133], v[114:115], s[20:21], -v[132:133]
	v_fma_f64 v[138:139], v[124:125], s[20:21], v[138:139]
	v_add_f64 v[0:1], v[0:1], v[48:49]
	v_add_f64 v[84:85], v[52:53], -v[60:61]
	v_add_f64 v[116:117], v[145:146], v[116:117]
	v_add_f64 v[78:79], v[108:109], v[78:79]
	;; [unrolled: 1-line block ×4, first 2 shown]
	v_mul_f64 v[108:109], v[66:67], s[30:31]
	v_fma_f64 v[147:148], v[70:71], s[0:1], v[155:156]
	v_mul_f64 v[145:146], v[68:69], s[30:31]
	v_add_f64 v[98:99], v[54:55], -v[62:63]
	v_add_f64 v[159:160], v[177:178], v[159:160]
	v_add_f64 v[177:178], v[40:41], v[181:182]
	v_mul_f64 v[163:164], v[102:103], s[28:29]
	v_mul_f64 v[110:111], v[102:103], s[24:25]
	v_fma_f64 v[183:184], v[106:107], s[0:1], -v[165:166]
	v_fma_f64 v[157:158], v[96:97], s[0:1], -v[157:158]
	v_fma_f64 v[165:166], v[106:107], s[0:1], v[165:166]
	v_add_f64 v[128:129], v[42:43], v[128:129]
	v_add_f64 v[140:141], v[40:41], v[140:141]
	v_fma_f64 v[155:156], v[70:71], s[0:1], -v[155:156]
	v_add_f64 v[2:3], v[2:3], v[64:65]
	v_add_f64 v[112:113], v[54:55], v[62:63]
	;; [unrolled: 1-line block ×3, first 2 shown]
	v_mul_f64 v[149:150], v[84:85], s[24:25]
	v_add_f64 v[116:117], v[171:172], v[116:117]
	v_add_f64 v[78:79], v[134:135], v[78:79]
	;; [unrolled: 1-line block ×4, first 2 shown]
	v_fma_f64 v[134:135], v[96:97], s[18:19], v[108:109]
	v_add_f64 v[142:143], v[42:43], v[147:148]
	v_fma_f64 v[147:148], v[120:121], s[6:7], v[153:154]
	v_fma_f64 v[175:176], v[106:107], s[18:19], -v[145:146]
	v_mul_f64 v[161:162], v[100:101], s[22:23]
	v_add_f64 v[173:174], v[40:41], v[173:174]
	v_fma_f64 v[181:182], v[126:127], s[6:7], -v[163:164]
	v_fma_f64 v[153:154], v[120:121], s[6:7], -v[153:154]
	v_fma_f64 v[163:164], v[126:127], s[6:7], v[163:164]
	v_fma_f64 v[64:65], v[114:115], s[18:19], -v[151:152]
	v_fma_f64 v[108:109], v[96:97], s[18:19], -v[108:109]
	v_add_f64 v[128:129], v[157:158], v[128:129]
	v_add_f64 v[140:141], v[165:166], v[140:141]
	v_fma_f64 v[165:166], v[126:127], s[20:21], -v[110:111]
	v_fma_f64 v[145:146], v[106:107], s[18:19], v[145:146]
	v_add_f64 v[2:3], v[2:3], v[50:51]
	v_mul_f64 v[48:49], v[92:93], s[28:29]
	v_add_f64 v[0:1], v[0:1], v[60:61]
	v_add_f64 v[88:89], v[88:89], v[116:117]
	;; [unrolled: 1-line block ×5, first 2 shown]
	v_mul_f64 v[118:119], v[86:87], s[28:29]
	v_fma_f64 v[132:133], v[74:75], s[0:1], v[167:168]
	v_fma_f64 v[138:139], v[120:121], s[20:21], v[169:170]
	v_add_f64 v[134:135], v[134:135], v[142:143]
	v_fma_f64 v[142:143], v[114:115], s[18:19], v[151:152]
	v_add_f64 v[147:148], v[147:148], v[159:160]
	v_add_f64 v[167:168], v[175:176], v[177:178]
	v_mul_f64 v[175:176], v[98:99], s[24:25]
	s_mov_b32 s25, 0xbfed1bb4
	v_mul_f64 v[159:160], v[100:101], s[28:29]
	v_add_f64 v[151:152], v[42:43], v[155:156]
	v_mul_f64 v[50:51], v[92:93], s[24:25]
	v_add_f64 v[122:123], v[52:53], v[60:61]
	v_add_f64 v[173:174], v[183:184], v[173:174]
	v_fma_f64 v[157:158], v[112:113], s[20:21], v[149:150]
	v_fma_f64 v[177:178], v[124:125], s[18:19], -v[161:162]
	v_add_f64 v[76:77], v[153:154], v[128:129]
	v_fma_f64 v[128:129], v[124:125], s[18:19], v[161:162]
	v_add_f64 v[140:141], v[163:164], v[140:141]
	v_fma_f64 v[92:93], v[112:113], s[20:21], -v[149:150]
	v_fma_f64 v[149:150], v[120:121], s[20:21], -v[169:170]
	v_fma_f64 v[110:111], v[126:127], s[20:21], v[110:111]
	v_fma_f64 v[155:156], v[114:115], s[6:7], v[118:119]
	v_add_f64 v[132:133], v[40:41], v[132:133]
	v_add_f64 v[2:3], v[2:3], v[54:55]
	;; [unrolled: 1-line block ×3, first 2 shown]
	v_fma_f64 v[52:53], v[74:75], s[6:7], v[48:49]
	v_add_f64 v[138:139], v[142:143], v[147:148]
	v_mul_f64 v[142:143], v[90:91], s[24:25]
	v_add_f64 v[163:164], v[165:166], v[167:168]
	v_mul_f64 v[90:91], v[90:91], s[28:29]
	v_fma_f64 v[161:162], v[124:125], s[6:7], -v[159:160]
	v_add_f64 v[108:109], v[108:109], v[151:152]
	v_fma_f64 v[54:55], v[74:75], s[20:21], v[50:51]
	v_fma_f64 v[50:51], v[74:75], s[20:21], -v[50:51]
	v_fma_f64 v[48:49], v[74:75], s[6:7], -v[48:49]
	v_add_f64 v[0:1], v[0:1], v[80:81]
	v_add_f64 v[173:174], v[181:182], v[173:174]
	v_fma_f64 v[165:166], v[122:123], s[20:21], -v[175:176]
	v_add_f64 v[64:65], v[64:65], v[76:77]
	v_fma_f64 v[76:77], v[122:123], s[20:21], v[175:176]
	v_mul_f64 v[74:75], v[94:95], s[30:31]
	v_fma_f64 v[118:119], v[114:115], s[6:7], -v[118:119]
	v_mul_f64 v[94:95], v[94:95], s[16:17]
	v_mul_f64 v[153:154], v[84:85], s[14:15]
	v_add_f64 v[132:133], v[145:146], v[132:133]
	v_mul_f64 v[145:146], v[66:67], s[14:15]
	v_add_f64 v[134:135], v[155:156], v[134:135]
	v_mul_f64 v[155:156], v[68:69], s[14:15]
	v_mul_f64 v[68:69], v[68:69], s[24:25]
	v_fma_f64 v[151:152], v[70:71], s[20:21], -v[142:143]
	v_fma_f64 v[142:143], v[70:71], s[20:21], v[142:143]
	v_mul_f64 v[66:67], v[66:67], s[24:25]
	v_add_f64 v[161:162], v[161:162], v[163:164]
	v_fma_f64 v[163:164], v[70:71], s[6:7], -v[90:91]
	v_add_f64 v[108:109], v[149:150], v[108:109]
	v_fma_f64 v[149:150], v[124:125], s[6:7], v[159:160]
	v_fma_f64 v[70:71], v[70:71], s[6:7], v[90:91]
	v_add_f64 v[2:3], v[2:3], v[62:63]
	v_add_f64 v[52:53], v[40:41], v[52:53]
	;; [unrolled: 1-line block ×7, first 2 shown]
	v_mul_f64 v[48:49], v[86:87], s[26:27]
	v_mul_f64 v[86:87], v[86:87], s[14:15]
	v_add_f64 v[90:91], v[110:111], v[132:133]
	v_mul_f64 v[110:111], v[102:103], s[30:31]
	v_fma_f64 v[132:133], v[96:97], s[2:3], -v[145:146]
	v_fma_f64 v[159:160], v[106:107], s[2:3], v[155:156]
	v_mul_f64 v[102:103], v[102:103], s[16:17]
	v_add_f64 v[151:152], v[42:43], v[151:152]
	v_fma_f64 v[175:176], v[106:107], s[20:21], v[68:69]
	v_fma_f64 v[60:61], v[96:97], s[2:3], v[145:146]
	v_add_f64 v[62:63], v[42:43], v[142:143]
	v_fma_f64 v[68:69], v[106:107], s[20:21], -v[68:69]
	v_fma_f64 v[173:174], v[96:97], s[20:21], -v[66:67]
	v_add_f64 v[163:164], v[42:43], v[163:164]
	v_fma_f64 v[142:143], v[106:107], s[2:3], -v[155:156]
	v_fma_f64 v[66:67], v[96:97], s[20:21], v[66:67]
	v_add_f64 v[42:43], v[42:43], v[70:71]
	v_mul_f64 v[70:71], v[100:101], s[26:27]
	v_fma_f64 v[96:97], v[120:121], s[18:19], -v[74:75]
	v_add_f64 v[2:3], v[2:3], v[72:73]
	v_fma_f64 v[72:73], v[120:121], s[18:19], v[74:75]
	v_add_f64 v[0:1], v[0:1], v[56:57]
	v_mul_f64 v[100:101], v[100:101], s[14:15]
	v_fma_f64 v[145:146], v[120:121], s[0:1], -v[94:95]
	v_fma_f64 v[74:75], v[120:121], s[0:1], v[94:95]
	v_mul_f64 v[130:131], v[84:85], s[16:17]
	v_mul_f64 v[136:137], v[98:99], s[16:17]
	v_add_f64 v[54:55], v[159:160], v[54:55]
	v_fma_f64 v[155:156], v[126:127], s[0:1], v[102:103]
	v_add_f64 v[106:107], v[132:133], v[151:152]
	v_fma_f64 v[132:133], v[126:127], s[18:19], v[110:111]
	v_add_f64 v[52:53], v[175:176], v[52:53]
	v_add_f64 v[60:61], v[60:61], v[62:63]
	;; [unrolled: 1-line block ×3, first 2 shown]
	v_mul_f64 v[68:69], v[84:85], s[12:13]
	v_add_f64 v[151:152], v[173:174], v[163:164]
	v_fma_f64 v[62:63], v[126:127], s[18:19], -v[110:111]
	v_add_f64 v[50:51], v[142:143], v[50:51]
	v_add_f64 v[42:43], v[66:67], v[42:43]
	v_fma_f64 v[66:67], v[126:127], s[0:1], -v[102:103]
	v_fma_f64 v[102:103], v[124:125], s[0:1], v[70:71]
	v_add_f64 v[2:3], v[2:3], v[46:47]
	v_mul_f64 v[147:148], v[98:99], s[14:15]
	v_mul_f64 v[80:81], v[98:99], s[12:13]
	v_fma_f64 v[94:95], v[114:115], s[0:1], -v[48:49]
	v_mul_f64 v[84:85], v[84:85], s[22:23]
	v_mul_f64 v[98:99], v[98:99], s[22:23]
	v_fma_f64 v[120:121], v[124:125], s[2:3], v[100:101]
	v_fma_f64 v[48:49], v[114:115], s[0:1], v[48:49]
	v_add_f64 v[128:129], v[128:129], v[140:141]
	v_fma_f64 v[104:105], v[112:113], s[0:1], v[130:131]
	v_add_f64 v[96:97], v[96:97], v[106:107]
	v_fma_f64 v[106:107], v[114:115], s[2:3], -v[86:87]
	v_add_f64 v[44:45], v[155:156], v[52:53]
	v_add_f64 v[46:47], v[132:133], v[54:55]
	;; [unrolled: 1-line block ×3, first 2 shown]
	v_fma_f64 v[54:55], v[124:125], s[0:1], -v[70:71]
	v_fma_f64 v[60:61], v[114:115], s[2:3], v[86:87]
	v_add_f64 v[70:71], v[118:119], v[108:109]
	v_fma_f64 v[86:87], v[112:113], s[6:7], -v[68:69]
	v_fma_f64 v[108:109], v[112:113], s[6:7], v[68:69]
	v_add_f64 v[68:69], v[0:1], v[38:39]
	buffer_load_dword v0, off, s[40:43], 0 offset:16 ; 4-byte Folded Reload
	v_add_f64 v[110:111], v[145:146], v[151:152]
	v_add_f64 v[50:51], v[62:63], v[50:51]
	v_add_f64 v[42:43], v[74:75], v[42:43]
	v_fma_f64 v[62:63], v[124:125], s[2:3], -v[100:101]
	v_add_f64 v[40:41], v[66:67], v[40:41]
	v_fma_f64 v[66:67], v[112:113], s[2:3], -v[153:154]
	v_add_f64 v[2:3], v[2:3], v[58:59]
	v_add_f64 v[74:75], v[149:150], v[90:91]
	v_fma_f64 v[72:73], v[122:123], s[2:3], v[147:148]
	v_fma_f64 v[171:172], v[122:123], s[0:1], -v[136:137]
	v_add_f64 v[90:91], v[94:95], v[96:97]
	v_fma_f64 v[96:97], v[112:113], s[18:19], -v[84:85]
	v_add_f64 v[56:57], v[120:121], v[44:45]
	v_fma_f64 v[94:95], v[122:123], s[6:7], v[80:81]
	v_add_f64 v[102:103], v[102:103], v[46:47]
	v_fma_f64 v[130:131], v[112:113], s[0:1], -v[130:131]
	v_fma_f64 v[136:137], v[122:123], s[0:1], v[136:137]
	v_fma_f64 v[140:141], v[112:113], s[2:3], v[153:154]
	v_fma_f64 v[169:170], v[122:123], s[2:3], -v[147:148]
	v_fma_f64 v[80:81], v[122:123], s[6:7], -v[80:81]
	v_fma_f64 v[84:85], v[112:113], s[18:19], v[84:85]
	v_add_f64 v[100:101], v[106:107], v[110:111]
	v_fma_f64 v[106:107], v[122:123], s[18:19], v[98:99]
	v_add_f64 v[110:111], v[48:49], v[52:53]
	v_add_f64 v[114:115], v[54:55], v[50:51]
	;; [unrolled: 1-line block ×3, first 2 shown]
	v_fma_f64 v[98:99], v[122:123], s[18:19], -v[98:99]
	v_add_f64 v[118:119], v[62:63], v[40:41]
	v_add_f64 v[58:59], v[66:67], v[70:71]
	;; [unrolled: 1-line block ×22, first 2 shown]
	s_waitcnt vmcnt(0)
	v_lshl_add_u32 v0, v243, 4, v0
	ds_write_b128 v236, v[68:71]
	ds_write_b128 v0, v[64:67] offset:432
	ds_write_b128 v0, v[60:63] offset:864
	;; [unrolled: 1-line block ×10, first 2 shown]
.LBB0_9:
	s_or_b32 exec_lo, exec_lo, s33
	s_waitcnt lgkmcnt(0)
	s_barrier
	buffer_gl0_inv
	ds_read_b128 v[36:39], v236
	ds_read_b128 v[40:43], v236 offset:528
	ds_read_b128 v[44:47], v236 offset:1056
	;; [unrolled: 1-line block ×3, first 2 shown]
	s_clause 0x3
	buffer_load_dword v86, off, s[40:43], 0
	buffer_load_dword v87, off, s[40:43], 0 offset:4
	buffer_load_dword v88, off, s[40:43], 0 offset:8
	;; [unrolled: 1-line block ×3, first 2 shown]
	v_mad_u64_u32 v[0:1], null, s10, v144, 0
	v_mad_u64_u32 v[2:3], null, s8, v243, 0
	ds_read_b128 v[52:55], v236 offset:2112
	ds_read_b128 v[56:59], v236 offset:2640
	;; [unrolled: 1-line block ×5, first 2 shown]
	s_mov_b32 s0, 0x2b18ff23
	s_mov_b32 s1, 0x3f6b951e
	s_mul_i32 s2, s9, 0x210
	s_mul_hi_u32 s3, s8, 0x210
	v_mad_u64_u32 v[76:77], null, s11, v144, v[1:2]
	v_mad_u64_u32 v[77:78], null, s9, v243, v[3:4]
	s_clause 0x7
	buffer_load_dword v4, off, s[40:43], 0 offset:24
	buffer_load_dword v5, off, s[40:43], 0 offset:28
	buffer_load_dword v6, off, s[40:43], 0 offset:32
	buffer_load_dword v7, off, s[40:43], 0 offset:36
	buffer_load_dword v8, off, s[40:43], 0 offset:40
	buffer_load_dword v9, off, s[40:43], 0 offset:44
	buffer_load_dword v10, off, s[40:43], 0 offset:48
	buffer_load_dword v11, off, s[40:43], 0 offset:52
	s_mul_i32 s6, s8, 0x210
	s_add_i32 s3, s3, s2
	s_waitcnt lgkmcnt(5)
	v_mul_f64 v[82:83], v[14:15], v[50:51]
	v_mul_f64 v[14:15], v[14:15], v[48:49]
	v_mov_b32_e32 v1, v76
	v_mov_b32_e32 v3, v77
	s_waitcnt lgkmcnt(4)
	v_mul_f64 v[84:85], v[22:23], v[54:55]
	v_mul_f64 v[22:23], v[22:23], v[52:53]
	s_waitcnt lgkmcnt(0)
	v_mul_f64 v[76:77], v[34:35], v[70:71]
	v_mul_f64 v[34:35], v[34:35], v[68:69]
	v_lshlrev_b64 v[0:1], 4, v[0:1]
	v_add_co_u32 v90, vcc_lo, s4, v0
	v_add_co_ci_u32_e32 v91, vcc_lo, s5, v1, vcc_lo
	s_waitcnt vmcnt(8)
	v_mul_f64 v[72:73], v[88:89], v[38:39]
	v_mul_f64 v[74:75], v[88:89], v[36:37]
	v_lshlrev_b64 v[88:89], 4, v[2:3]
	s_waitcnt vmcnt(4)
	v_mul_f64 v[78:79], v[6:7], v[42:43]
	v_mul_f64 v[6:7], v[6:7], v[40:41]
	s_waitcnt vmcnt(0)
	v_mul_f64 v[80:81], v[10:11], v[46:47]
	v_mul_f64 v[10:11], v[10:11], v[44:45]
	v_fma_f64 v[36:37], v[86:87], v[36:37], v[72:73]
	v_fma_f64 v[38:39], v[86:87], v[38:39], -v[74:75]
	v_mul_f64 v[72:73], v[18:19], v[58:59]
	v_mul_f64 v[18:19], v[18:19], v[56:57]
	;; [unrolled: 1-line block ×6, first 2 shown]
	v_fma_f64 v[40:41], v[4:5], v[40:41], v[78:79]
	v_fma_f64 v[6:7], v[4:5], v[42:43], -v[6:7]
	v_fma_f64 v[42:43], v[8:9], v[44:45], v[80:81]
	v_fma_f64 v[10:11], v[8:9], v[46:47], -v[10:11]
	v_mul_f64 v[0:1], v[36:37], s[0:1]
	v_mul_f64 v[2:3], v[38:39], s[0:1]
	v_fma_f64 v[38:39], v[12:13], v[48:49], v[82:83]
	v_fma_f64 v[12:13], v[12:13], v[50:51], -v[14:15]
	v_fma_f64 v[14:15], v[20:21], v[52:53], v[84:85]
	v_fma_f64 v[20:21], v[20:21], v[54:55], -v[22:23]
	v_add_co_u32 v36, vcc_lo, v90, v88
	v_fma_f64 v[22:23], v[16:17], v[56:57], v[72:73]
	v_fma_f64 v[18:19], v[16:17], v[58:59], -v[18:19]
	v_fma_f64 v[46:47], v[28:29], v[60:61], v[74:75]
	v_fma_f64 v[28:29], v[28:29], v[62:63], -v[30:31]
	v_add_co_ci_u32_e32 v37, vcc_lo, v91, v89, vcc_lo
	v_fma_f64 v[30:31], v[24:25], v[64:65], v[86:87]
	v_fma_f64 v[26:27], v[24:25], v[66:67], -v[26:27]
	v_fma_f64 v[48:49], v[32:33], v[68:69], v[76:77]
	v_fma_f64 v[32:33], v[32:33], v[70:71], -v[34:35]
	v_add_co_u32 v44, vcc_lo, v36, s6
	v_add_co_ci_u32_e32 v45, vcc_lo, s3, v37, vcc_lo
	v_mul_f64 v[4:5], v[40:41], s[0:1]
	v_mul_f64 v[6:7], v[6:7], s[0:1]
	v_add_co_u32 v34, vcc_lo, v44, s6
	v_add_co_ci_u32_e32 v35, vcc_lo, s3, v45, vcc_lo
	global_store_dwordx4 v[36:37], v[0:3], off
	v_add_co_u32 v36, vcc_lo, v34, s6
	v_add_co_ci_u32_e32 v37, vcc_lo, s3, v35, vcc_lo
	v_mul_f64 v[8:9], v[42:43], s[0:1]
	v_mul_f64 v[10:11], v[10:11], s[0:1]
	v_mul_f64 v[0:1], v[38:39], s[0:1]
	v_mul_f64 v[2:3], v[12:13], s[0:1]
	v_add_co_u32 v38, vcc_lo, v36, s6
	v_mul_f64 v[12:13], v[14:15], s[0:1]
	v_mul_f64 v[14:15], v[20:21], s[0:1]
	v_add_co_ci_u32_e32 v39, vcc_lo, s3, v37, vcc_lo
	v_mul_f64 v[16:17], v[22:23], s[0:1]
	v_mul_f64 v[18:19], v[18:19], s[0:1]
	;; [unrolled: 1-line block ×8, first 2 shown]
	v_add_co_u32 v32, vcc_lo, v38, s6
	v_add_co_ci_u32_e32 v33, vcc_lo, s3, v39, vcc_lo
	global_store_dwordx4 v[44:45], v[4:7], off
	v_add_co_u32 v4, vcc_lo, v32, s6
	v_add_co_ci_u32_e32 v5, vcc_lo, s3, v33, vcc_lo
	global_store_dwordx4 v[34:35], v[8:11], off
	;; [unrolled: 3-line block ×4, first 2 shown]
	global_store_dwordx4 v[32:33], v[16:19], off
	global_store_dwordx4 v[4:5], v[20:23], off
	global_store_dwordx4 v[6:7], v[24:27], off
	global_store_dwordx4 v[0:1], v[28:31], off
.LBB0_10:
	s_endpgm
	.section	.rodata,"a",@progbits
	.p2align	6, 0x0
	.amdhsa_kernel bluestein_single_fwd_len297_dim1_dp_op_CI_CI
		.amdhsa_group_segment_fixed_size 33264
		.amdhsa_private_segment_fixed_size 84
		.amdhsa_kernarg_size 104
		.amdhsa_user_sgpr_count 6
		.amdhsa_user_sgpr_private_segment_buffer 1
		.amdhsa_user_sgpr_dispatch_ptr 0
		.amdhsa_user_sgpr_queue_ptr 0
		.amdhsa_user_sgpr_kernarg_segment_ptr 1
		.amdhsa_user_sgpr_dispatch_id 0
		.amdhsa_user_sgpr_flat_scratch_init 0
		.amdhsa_user_sgpr_private_segment_size 0
		.amdhsa_wavefront_size32 1
		.amdhsa_uses_dynamic_stack 0
		.amdhsa_system_sgpr_private_segment_wavefront_offset 1
		.amdhsa_system_sgpr_workgroup_id_x 1
		.amdhsa_system_sgpr_workgroup_id_y 0
		.amdhsa_system_sgpr_workgroup_id_z 0
		.amdhsa_system_sgpr_workgroup_info 0
		.amdhsa_system_vgpr_workitem_id 0
		.amdhsa_next_free_vgpr 256
		.amdhsa_next_free_sgpr 44
		.amdhsa_reserve_vcc 1
		.amdhsa_reserve_flat_scratch 0
		.amdhsa_float_round_mode_32 0
		.amdhsa_float_round_mode_16_64 0
		.amdhsa_float_denorm_mode_32 3
		.amdhsa_float_denorm_mode_16_64 3
		.amdhsa_dx10_clamp 1
		.amdhsa_ieee_mode 1
		.amdhsa_fp16_overflow 0
		.amdhsa_workgroup_processor_mode 1
		.amdhsa_memory_ordered 1
		.amdhsa_forward_progress 0
		.amdhsa_shared_vgpr_count 0
		.amdhsa_exception_fp_ieee_invalid_op 0
		.amdhsa_exception_fp_denorm_src 0
		.amdhsa_exception_fp_ieee_div_zero 0
		.amdhsa_exception_fp_ieee_overflow 0
		.amdhsa_exception_fp_ieee_underflow 0
		.amdhsa_exception_fp_ieee_inexact 0
		.amdhsa_exception_int_div_zero 0
	.end_amdhsa_kernel
	.text
.Lfunc_end0:
	.size	bluestein_single_fwd_len297_dim1_dp_op_CI_CI, .Lfunc_end0-bluestein_single_fwd_len297_dim1_dp_op_CI_CI
                                        ; -- End function
	.section	.AMDGPU.csdata,"",@progbits
; Kernel info:
; codeLenInByte = 13444
; NumSgprs: 46
; NumVgprs: 256
; ScratchSize: 84
; MemoryBound: 0
; FloatMode: 240
; IeeeMode: 1
; LDSByteSize: 33264 bytes/workgroup (compile time only)
; SGPRBlocks: 5
; VGPRBlocks: 31
; NumSGPRsForWavesPerEU: 46
; NumVGPRsForWavesPerEU: 256
; Occupancy: 4
; WaveLimiterHint : 1
; COMPUTE_PGM_RSRC2:SCRATCH_EN: 1
; COMPUTE_PGM_RSRC2:USER_SGPR: 6
; COMPUTE_PGM_RSRC2:TRAP_HANDLER: 0
; COMPUTE_PGM_RSRC2:TGID_X_EN: 1
; COMPUTE_PGM_RSRC2:TGID_Y_EN: 0
; COMPUTE_PGM_RSRC2:TGID_Z_EN: 0
; COMPUTE_PGM_RSRC2:TIDIG_COMP_CNT: 0
	.text
	.p2alignl 6, 3214868480
	.fill 48, 4, 3214868480
	.type	__hip_cuid_710398e3c314728d,@object ; @__hip_cuid_710398e3c314728d
	.section	.bss,"aw",@nobits
	.globl	__hip_cuid_710398e3c314728d
__hip_cuid_710398e3c314728d:
	.byte	0                               ; 0x0
	.size	__hip_cuid_710398e3c314728d, 1

	.ident	"AMD clang version 19.0.0git (https://github.com/RadeonOpenCompute/llvm-project roc-6.4.0 25133 c7fe45cf4b819c5991fe208aaa96edf142730f1d)"
	.section	".note.GNU-stack","",@progbits
	.addrsig
	.addrsig_sym __hip_cuid_710398e3c314728d
	.amdgpu_metadata
---
amdhsa.kernels:
  - .args:
      - .actual_access:  read_only
        .address_space:  global
        .offset:         0
        .size:           8
        .value_kind:     global_buffer
      - .actual_access:  read_only
        .address_space:  global
        .offset:         8
        .size:           8
        .value_kind:     global_buffer
      - .actual_access:  read_only
        .address_space:  global
        .offset:         16
        .size:           8
        .value_kind:     global_buffer
      - .actual_access:  read_only
        .address_space:  global
        .offset:         24
        .size:           8
        .value_kind:     global_buffer
      - .actual_access:  read_only
        .address_space:  global
        .offset:         32
        .size:           8
        .value_kind:     global_buffer
      - .offset:         40
        .size:           8
        .value_kind:     by_value
      - .address_space:  global
        .offset:         48
        .size:           8
        .value_kind:     global_buffer
      - .address_space:  global
        .offset:         56
        .size:           8
        .value_kind:     global_buffer
      - .address_space:  global
        .offset:         64
        .size:           8
        .value_kind:     global_buffer
      - .address_space:  global
        .offset:         72
        .size:           8
        .value_kind:     global_buffer
      - .offset:         80
        .size:           4
        .value_kind:     by_value
      - .address_space:  global
        .offset:         88
        .size:           8
        .value_kind:     global_buffer
      - .address_space:  global
        .offset:         96
        .size:           8
        .value_kind:     global_buffer
    .group_segment_fixed_size: 33264
    .kernarg_segment_align: 8
    .kernarg_segment_size: 104
    .language:       OpenCL C
    .language_version:
      - 2
      - 0
    .max_flat_workgroup_size: 231
    .name:           bluestein_single_fwd_len297_dim1_dp_op_CI_CI
    .private_segment_fixed_size: 84
    .sgpr_count:     46
    .sgpr_spill_count: 0
    .symbol:         bluestein_single_fwd_len297_dim1_dp_op_CI_CI.kd
    .uniform_work_group_size: 1
    .uses_dynamic_stack: false
    .vgpr_count:     256
    .vgpr_spill_count: 20
    .wavefront_size: 32
    .workgroup_processor_mode: 1
amdhsa.target:   amdgcn-amd-amdhsa--gfx1030
amdhsa.version:
  - 1
  - 2
...

	.end_amdgpu_metadata
